;; amdgpu-corpus repo=ROCm/rocFFT kind=compiled arch=gfx1201 opt=O3
	.text
	.amdgcn_target "amdgcn-amd-amdhsa--gfx1201"
	.amdhsa_code_object_version 6
	.protected	bluestein_single_fwd_len680_dim1_dp_op_CI_CI ; -- Begin function bluestein_single_fwd_len680_dim1_dp_op_CI_CI
	.globl	bluestein_single_fwd_len680_dim1_dp_op_CI_CI
	.p2align	8
	.type	bluestein_single_fwd_len680_dim1_dp_op_CI_CI,@function
bluestein_single_fwd_len680_dim1_dp_op_CI_CI: ; @bluestein_single_fwd_len680_dim1_dp_op_CI_CI
; %bb.0:
	s_load_b128 s[8:11], s[0:1], 0x28
	v_mul_u32_u24_e32 v1, 0x3c4, v0
	s_mov_b32 s2, exec_lo
	s_delay_alu instid0(VALU_DEP_1) | instskip(NEXT) | instid1(VALU_DEP_1)
	v_lshrrev_b32_e32 v1, 16, v1
	v_mad_co_u64_u32 v[156:157], null, ttmp9, 3, v[1:2]
	v_mov_b32_e32 v157, 0
                                        ; kill: def $vgpr2 killed $sgpr0 killed $exec
	s_wait_kmcnt 0x0
	s_delay_alu instid0(VALU_DEP_1)
	v_cmpx_gt_u64_e64 s[8:9], v[156:157]
	s_cbranch_execz .LBB0_23
; %bb.1:
	v_mul_hi_u32 v2, 0xaaaaaaab, v156
	v_mul_lo_u16 v1, 0x44, v1
	s_clause 0x1
	s_load_b64 s[8:9], s[0:1], 0x0
	s_load_b64 s[12:13], s[0:1], 0x38
	s_delay_alu instid0(VALU_DEP_1) | instskip(NEXT) | instid1(VALU_DEP_3)
	v_sub_nc_u16 v0, v0, v1
	v_lshrrev_b32_e32 v2, 1, v2
	s_delay_alu instid0(VALU_DEP_2) | instskip(SKIP_1) | instid1(VALU_DEP_3)
	v_and_b32_e32 v177, 0xffff, v0
	v_cmp_gt_u16_e32 vcc_lo, 40, v0
	v_lshl_add_u32 v2, v2, 1, v2
	s_delay_alu instid0(VALU_DEP_3) | instskip(SKIP_1) | instid1(VALU_DEP_3)
	v_or_b32_e32 v0, 0x140, v177
	v_lshlrev_b32_e32 v255, 4, v177
	v_sub_nc_u32_e32 v1, v156, v2
	scratch_store_b32 off, v0, off offset:28 ; 4-byte Folded Spill
	v_mul_u32_u24_e32 v237, 0x2a8, v1
	s_delay_alu instid0(VALU_DEP_1)
	v_lshlrev_b32_e32 v0, 4, v237
	scratch_store_b32 off, v0, off          ; 4-byte Folded Spill
	v_or_b32_e32 v0, 0x280, v177
	scratch_store_b32 off, v0, off offset:24 ; 4-byte Folded Spill
	s_and_saveexec_b32 s3, vcc_lo
	s_cbranch_execz .LBB0_3
; %bb.2:
	s_load_b64 s[4:5], s[0:1], 0x18
	v_or_b32_e32 v44, 0x280, v177
	s_wait_kmcnt 0x0
	s_load_b128 s[4:7], s[4:5], 0x0
	s_wait_kmcnt 0x0
	v_mad_co_u64_u32 v[24:25], null, s6, v156, 0
	v_mad_co_u64_u32 v[40:41], null, s4, v177, 0
	;; [unrolled: 1-line block ×3, first 2 shown]
	s_delay_alu instid0(VALU_DEP_2) | instskip(NEXT) | instid1(VALU_DEP_1)
	v_dual_mov_b32 v0, v25 :: v_dual_mov_b32 v1, v41
	v_mad_co_u64_u32 v[8:9], null, s7, v156, v[0:1]
	v_mad_co_u64_u32 v[26:27], null, s5, v177, v[1:2]
	s_mul_u64 s[6:7], s[4:5], 0x280
	s_clause 0x1
	global_load_b128 v[0:3], v255, s[8:9]
	global_load_b128 v[4:7], v255, s[8:9] offset:640
	v_mov_b32_e32 v25, v8
	s_clause 0x3
	global_load_b128 v[8:11], v255, s[8:9] offset:1280
	global_load_b128 v[12:15], v255, s[8:9] offset:1920
	;; [unrolled: 1-line block ×4, first 2 shown]
	v_mov_b32_e32 v41, v26
	v_lshlrev_b64_e32 v[42:43], 4, v[24:25]
	s_clause 0x3
	global_load_b128 v[24:27], v255, s[8:9] offset:3840
	global_load_b128 v[28:31], v255, s[8:9] offset:4480
	;; [unrolled: 1-line block ×4, first 2 shown]
	v_lshlrev_b64_e32 v[40:41], 4, v[40:41]
	v_add_co_u32 v62, s2, s10, v42
	s_delay_alu instid0(VALU_DEP_1) | instskip(SKIP_1) | instid1(VALU_DEP_3)
	v_add_co_ci_u32_e64 v63, s2, s11, v43, s2
	v_or_b32_e32 v42, 0x140, v177
	v_add_co_u32 v68, s2, v62, v40
	s_wait_alu 0xf1ff
	s_delay_alu instid0(VALU_DEP_3) | instskip(NEXT) | instid1(VALU_DEP_3)
	v_add_co_ci_u32_e64 v69, s2, v63, v41, s2
	v_mad_co_u64_u32 v[48:49], null, s4, v42, 0
	s_wait_alu 0xfffe
	v_add_co_u32 v72, s2, v68, s6
	s_wait_alu 0xf1ff
	v_add_co_ci_u32_e64 v73, s2, s7, v69, s2
	v_mov_b32_e32 v41, v57
	s_delay_alu instid0(VALU_DEP_3) | instskip(SKIP_1) | instid1(VALU_DEP_3)
	v_add_co_u32 v76, s2, v72, s6
	s_wait_alu 0xf1ff
	v_add_co_ci_u32_e64 v77, s2, s7, v73, s2
	v_mov_b32_e32 v40, v49
	s_delay_alu instid0(VALU_DEP_3) | instskip(SKIP_1) | instid1(VALU_DEP_3)
	v_add_co_u32 v80, s2, v76, s6
	s_wait_alu 0xf1ff
	v_add_co_ci_u32_e64 v81, s2, s7, v77, s2
	s_delay_alu instid0(VALU_DEP_3) | instskip(NEXT) | instid1(VALU_DEP_3)
	v_mad_co_u64_u32 v[42:43], null, s5, v42, v[40:41]
	v_add_co_u32 v84, s2, v80, s6
	s_wait_alu 0xf1ff
	s_delay_alu instid0(VALU_DEP_3) | instskip(NEXT) | instid1(VALU_DEP_2)
	v_add_co_ci_u32_e64 v85, s2, s7, v81, s2
	v_add_co_u32 v88, s2, v84, s6
	s_wait_alu 0xf1ff
	s_delay_alu instid0(VALU_DEP_2) | instskip(SKIP_1) | instid1(VALU_DEP_3)
	v_add_co_ci_u32_e64 v89, s2, s7, v85, s2
	v_mad_co_u64_u32 v[50:51], null, s5, v44, v[41:42]
	v_add_co_u32 v92, s2, v88, s6
	s_wait_alu 0xf1ff
	s_delay_alu instid0(VALU_DEP_3) | instskip(SKIP_1) | instid1(VALU_DEP_3)
	v_add_co_ci_u32_e64 v93, s2, s7, v89, s2
	v_mov_b32_e32 v49, v42
	v_add_co_u32 v96, s2, v92, s6
	s_wait_alu 0xf1ff
	s_delay_alu instid0(VALU_DEP_3)
	v_add_co_ci_u32_e64 v97, s2, s7, v93, s2
	v_mov_b32_e32 v57, v50
	v_lshlrev_b64_e32 v[58:59], 4, v[48:49]
	s_clause 0x1
	global_load_b128 v[40:43], v255, s[8:9] offset:6400
	global_load_b128 v[44:47], v255, s[8:9] offset:7040
	v_mad_co_u64_u32 v[100:101], null, 0x500, s4, v[96:97]
	v_lshlrev_b64_e32 v[56:57], 4, v[56:57]
	s_clause 0x1
	global_load_b128 v[48:51], v255, s[8:9] offset:7680
	global_load_b128 v[52:55], v255, s[8:9] offset:8320
	v_add_co_u32 v60, s2, v62, v58
	s_wait_alu 0xf1ff
	v_add_co_ci_u32_e64 v61, s2, v63, v59, s2
	v_mov_b32_e32 v64, v101
	v_add_co_u32 v65, s2, v62, v56
	s_wait_alu 0xf1ff
	v_add_co_ci_u32_e64 v66, s2, v63, v57, s2
	v_add_co_u32 v104, s2, v100, s6
	s_delay_alu instid0(VALU_DEP_3)
	v_mad_co_u64_u32 v[94:95], null, 0x500, s5, v[64:65]
	global_load_b128 v[56:59], v255, s[8:9] offset:10240
	s_clause 0x6
	global_load_b128 v[60:63], v[60:61], off
	global_load_b128 v[64:67], v[65:66], off
	;; [unrolled: 1-line block ×9, first 2 shown]
	v_mov_b32_e32 v101, v94
	global_load_b128 v[92:95], v[92:93], off
	s_wait_alu 0xf1ff
	v_add_co_ci_u32_e64 v105, s2, s7, v101, s2
	v_add_co_u32 v108, s2, v104, s6
	global_load_b128 v[100:103], v[100:101], off
	s_wait_alu 0xf1ff
	v_add_co_ci_u32_e64 v109, s2, s7, v105, s2
	v_add_co_u32 v112, s2, v108, s6
	;; [unrolled: 4-line block ×5, first 2 shown]
	s_wait_alu 0xf1ff
	s_delay_alu instid0(VALU_DEP_2)
	v_add_co_ci_u32_e64 v133, s2, s7, v121, s2
	global_load_b128 v[116:119], v[116:117], off
	global_load_b128 v[120:123], v[120:121], off
	s_clause 0x1
	global_load_b128 v[124:127], v255, s[8:9] offset:8960
	global_load_b128 v[128:131], v255, s[8:9] offset:9600
	global_load_b128 v[132:135], v[132:133], off
	s_wait_loadcnt 0x10
	v_mul_f64_e32 v[136:137], v[70:71], v[2:3]
	v_mul_f64_e32 v[2:3], v[68:69], v[2:3]
	s_wait_loadcnt 0xf
	v_mul_f64_e32 v[142:143], v[74:75], v[6:7]
	v_mul_f64_e32 v[144:145], v[72:73], v[6:7]
	;; [unrolled: 1-line block ×4, first 2 shown]
	s_wait_loadcnt 0xe
	v_mul_f64_e32 v[146:147], v[78:79], v[10:11]
	v_mul_f64_e32 v[10:11], v[76:77], v[10:11]
	s_wait_loadcnt 0xd
	v_mul_f64_e32 v[148:149], v[82:83], v[14:15]
	v_mul_f64_e32 v[14:15], v[80:81], v[14:15]
	;; [unrolled: 3-line block ×5, first 2 shown]
	v_mul_f64_e32 v[157:158], v[98:99], v[30:31]
	v_mul_f64_e32 v[159:160], v[96:97], v[30:31]
	;; [unrolled: 1-line block ×3, first 2 shown]
	s_wait_loadcnt 0x8
	v_mul_f64_e32 v[161:162], v[102:103], v[38:39]
	v_mul_f64_e32 v[38:39], v[100:101], v[38:39]
	;; [unrolled: 1-line block ×3, first 2 shown]
	s_wait_loadcnt 0x7
	v_mul_f64_e32 v[163:164], v[106:107], v[42:43]
	v_mul_f64_e32 v[42:43], v[104:105], v[42:43]
	s_wait_loadcnt 0x6
	v_mul_f64_e32 v[165:166], v[110:111], v[46:47]
	v_mul_f64_e32 v[46:47], v[108:109], v[46:47]
	s_wait_loadcnt 0x5
	v_mul_f64_e32 v[167:168], v[114:115], v[50:51]
	v_mul_f64_e32 v[50:51], v[112:113], v[50:51]
	s_wait_loadcnt 0x4
	v_mul_f64_e32 v[169:170], v[118:119], v[54:55]
	v_mul_f64_e32 v[54:55], v[116:117], v[54:55]
	s_wait_loadcnt 0x2
	v_mul_f64_e32 v[171:172], v[122:123], v[126:127]
	v_mul_f64_e32 v[126:127], v[120:121], v[126:127]
	s_wait_loadcnt 0x0
	v_mul_f64_e32 v[173:174], v[134:135], v[130:131]
	v_mul_f64_e32 v[130:131], v[132:133], v[130:131]
	v_fma_f64 v[68:69], v[68:69], v[0:1], v[136:137]
	v_fma_f64 v[70:71], v[70:71], v[0:1], -v[2:3]
	v_fma_f64 v[0:1], v[60:61], v[32:33], v[138:139]
	v_fma_f64 v[2:3], v[62:63], v[32:33], -v[34:35]
	;; [unrolled: 2-line block ×11, first 2 shown]
	v_fma_f64 v[6:7], v[64:65], v[56:57], v[140:141]
	v_fma_f64 v[42:43], v[108:109], v[44:45], v[165:166]
	v_fma_f64 v[44:45], v[110:111], v[44:45], -v[46:47]
	v_fma_f64 v[8:9], v[66:67], v[56:57], -v[175:176]
	v_lshlrev_b32_e32 v5, 4, v237
	v_fma_f64 v[46:47], v[112:113], v[48:49], v[167:168]
	v_fma_f64 v[48:49], v[114:115], v[48:49], -v[50:51]
	s_delay_alu instid0(VALU_DEP_3)
	v_lshl_add_u32 v4, v177, 4, v5
	v_fma_f64 v[50:51], v[116:117], v[52:53], v[169:170]
	v_fma_f64 v[52:53], v[118:119], v[52:53], -v[54:55]
	v_fma_f64 v[62:63], v[120:121], v[124:125], v[171:172]
	v_fma_f64 v[64:65], v[122:123], v[124:125], -v[126:127]
	;; [unrolled: 2-line block ×3, first 2 shown]
	v_add_nc_u32_e32 v5, v5, v255
	ds_store_b128 v4, v[68:71]
	ds_store_b128 v5, v[30:33] offset:640
	ds_store_b128 v5, v[58:61] offset:1280
	;; [unrolled: 1-line block ×16, first 2 shown]
.LBB0_3:
	s_or_b32 exec_lo, exec_lo, s3
	scratch_store_b32 off, v177, off offset:4 ; 4-byte Folded Spill
	global_wb scope:SCOPE_SE
	s_wait_storecnt_dscnt 0x0
	s_wait_kmcnt 0x0
	s_barrier_signal -1
	s_barrier_wait -1
	global_inv scope:SCOPE_SE
                                        ; implicit-def: $vgpr20_vgpr21
                                        ; implicit-def: $vgpr40_vgpr41
                                        ; implicit-def: $vgpr44_vgpr45
                                        ; implicit-def: $vgpr56_vgpr57
                                        ; implicit-def: $vgpr72_vgpr73
                                        ; implicit-def: $vgpr80_vgpr81
                                        ; implicit-def: $vgpr64_vgpr65
                                        ; implicit-def: $vgpr36_vgpr37
                                        ; implicit-def: $vgpr32_vgpr33
                                        ; implicit-def: $vgpr28_vgpr29
                                        ; implicit-def: $vgpr24_vgpr25
                                        ; implicit-def: $vgpr84_vgpr85
                                        ; implicit-def: $vgpr76_vgpr77
                                        ; implicit-def: $vgpr68_vgpr69
                                        ; implicit-def: $vgpr60_vgpr61
                                        ; implicit-def: $vgpr52_vgpr53
                                        ; implicit-def: $vgpr48_vgpr49
	s_and_saveexec_b32 s2, vcc_lo
	s_cbranch_execz .LBB0_5
; %bb.4:
	v_lshl_add_u32 v0, v237, 4, v255
	ds_load_b128 v[20:23], v0
	ds_load_b128 v[48:51], v0 offset:640
	ds_load_b128 v[52:55], v0 offset:1280
	;; [unrolled: 1-line block ×16, first 2 shown]
.LBB0_5:
	s_wait_alu 0xfffe
	s_or_b32 exec_lo, exec_lo, s2
	s_wait_dscnt 0x0
	v_add_f64_e64 v[2:3], v[50:51], -v[26:27]
	s_mov_b32 s40, 0x5d8e7cdc
	s_mov_b32 s41, 0xbfd71e95
	v_add_f64_e32 v[108:109], v[24:25], v[48:49]
	v_add_f64_e64 v[0:1], v[48:49], -v[24:25]
	v_add_f64_e64 v[114:115], v[54:55], -v[30:31]
	s_mov_b32 s4, 0x370991
	s_mov_b32 s46, 0x2a9d6da3
	;; [unrolled: 1-line block ×4, first 2 shown]
	v_add_f64_e32 v[110:111], v[26:27], v[50:51]
	v_add_f64_e32 v[104:105], v[28:29], v[52:53]
	v_add_f64_e64 v[112:113], v[52:53], -v[28:29]
	s_mov_b32 s6, 0x75d4884
	s_mov_b32 s7, 0x3fe7a5f6
	v_add_f64_e32 v[106:107], v[30:31], v[54:55]
	s_mov_b32 s42, 0xeb564b22
	s_mov_b32 s30, 0x4363dd80
	;; [unrolled: 1-line block ×22, first 2 shown]
	v_mul_f64_e32 v[4:5], s[40:41], v[2:3]
	v_mul_f64_e32 v[8:9], s[46:47], v[2:3]
	;; [unrolled: 1-line block ×13, first 2 shown]
	s_mov_b32 s51, 0x3fe0d888
	s_mov_b32 s50, s30
	v_mul_f64_e32 v[90:91], s[24:25], v[0:1]
	s_mov_b32 s20, 0x910ea3b9
	s_mov_b32 s21, 0xbfeb34fa
	v_mul_f64_e32 v[92:93], s[26:27], v[2:3]
	;; [unrolled: 3-line block ×5, first 2 shown]
	v_add_f64_e32 v[144:145], v[40:41], v[32:33]
	v_add_f64_e32 v[148:149], v[42:43], v[34:35]
	s_mov_b32 s39, 0x3fc7851a
	s_mov_b32 s38, s34
	v_add_f64_e32 v[177:178], v[44:45], v[36:37]
	v_add_f64_e32 v[181:182], v[46:47], v[38:39]
	s_mov_b32 s53, 0x3fe9895b
	s_mov_b32 s52, s26
	v_add_f64_e64 v[120:121], v[62:63], -v[66:67]
	v_add_f64_e32 v[209:210], v[64:65], v[60:61]
	scratch_store_b64 off, v[4:5], off offset:8 ; 8-byte Folded Spill
	s_wait_alu 0xfffe
	v_fma_f64 v[4:5], v[108:109], s[4:5], v[4:5]
	scratch_store_b64 off, v[8:9], off offset:36 ; 8-byte Folded Spill
	v_fma_f64 v[8:9], v[108:109], s[6:7], v[8:9]
	scratch_store_b64 off, v[6:7], off offset:16 ; 8-byte Folded Spill
	v_fma_f64 v[6:7], v[110:111], s[4:5], -v[6:7]
	scratch_store_b64 off, v[116:117], off offset:116 ; 8-byte Folded Spill
	v_fma_f64 v[116:117], v[104:105], s[6:7], v[116:117]
	scratch_store_b64 off, v[10:11], off offset:44 ; 8-byte Folded Spill
	v_fma_f64 v[10:11], v[110:111], s[6:7], -v[10:11]
	s_clause 0x6
	scratch_store_b64 off, v[96:97], off offset:132
	scratch_store_b64 off, v[98:99], off offset:140
	;; [unrolled: 1-line block ×7, first 2 shown]
	v_fma_f64 v[12:13], v[108:109], s[10:11], v[12:13]
	v_fma_f64 v[14:15], v[110:111], s[10:11], -v[14:15]
	v_fma_f64 v[16:17], v[108:109], s[14:15], v[16:17]
	v_fma_f64 v[18:19], v[110:111], s[14:15], -v[18:19]
	s_clause 0x3
	scratch_store_b64 off, v[88:89], off offset:84
	scratch_store_b64 off, v[90:91], off offset:92
	;; [unrolled: 1-line block ×4, first 2 shown]
	v_fma_f64 v[88:89], v[108:109], s[16:17], v[88:89]
	v_fma_f64 v[90:91], v[110:111], s[16:17], -v[90:91]
	v_fma_f64 v[92:93], v[108:109], s[18:19], v[92:93]
	v_fma_f64 v[94:95], v[110:111], s[18:19], -v[94:95]
	;; [unrolled: 2-line block ×3, first 2 shown]
	v_fma_f64 v[100:101], v[108:109], s[22:23], -v[2:3]
	v_fma_f64 v[2:3], v[108:109], s[22:23], v[2:3]
	v_fma_f64 v[102:103], v[110:111], s[22:23], v[0:1]
	v_fma_f64 v[0:1], v[110:111], s[22:23], -v[0:1]
	v_add_f64_e32 v[211:212], v[66:67], v[62:63]
	v_mul_f64_e32 v[249:250], s[36:37], v[120:121]
	v_mul_f64_e32 v[245:246], s[34:35], v[120:121]
	;; [unrolled: 1-line block ×3, first 2 shown]
	v_add_f64_e32 v[4:5], v[20:21], v[4:5]
	v_add_f64_e64 v[128:129], v[70:71], -v[82:83]
	v_add_f64_e32 v[8:9], v[20:21], v[8:9]
	v_add_f64_e32 v[239:240], v[80:81], v[68:69]
	v_add_f64_e32 v[6:7], v[22:23], v[6:7]
	v_add_f64_e32 v[241:242], v[82:83], v[70:71]
	v_add_f64_e64 v[165:166], v[58:59], -v[86:87]
	v_add_f64_e64 v[163:164], v[56:57], -v[84:85]
	v_add_f64_e32 v[10:11], v[22:23], v[10:11]
	v_add_f64_e64 v[233:234], v[74:75], -v[78:79]
	v_add_f64_e64 v[227:228], v[72:73], -v[76:77]
	s_load_b64 s[2:3], s[0:1], 0x20
	v_add_f64_e32 v[12:13], v[20:21], v[12:13]
	v_add_f64_e32 v[14:15], v[22:23], v[14:15]
	;; [unrolled: 1-line block ×15, first 2 shown]
	v_fma_f64 v[116:117], v[106:107], s[6:7], -v[118:119]
	v_mul_f64_e32 v[118:119], s[42:43], v[112:113]
	v_mul_f64_e32 v[150:151], s[48:49], v[128:129]
	;; [unrolled: 1-line block ×23, first 2 shown]
	v_add_f64_e32 v[6:7], v[116:117], v[6:7]
	v_mul_f64_e32 v[116:117], s[42:43], v[114:115]
	s_clause 0x1
	scratch_store_b64 off, v[118:119], off offset:204
	scratch_store_b64 off, v[116:117], off offset:196
	v_fma_f64 v[116:117], v[104:105], s[14:15], v[116:117]
	s_delay_alu instid0(VALU_DEP_1) | instskip(SKIP_2) | instid1(VALU_DEP_2)
	v_add_f64_e32 v[8:9], v[116:117], v[8:9]
	v_fma_f64 v[116:117], v[106:107], s[14:15], -v[118:119]
	v_mul_f64_e32 v[118:119], s[26:27], v[112:113]
	v_add_f64_e32 v[10:11], v[116:117], v[10:11]
	v_mul_f64_e32 v[116:117], s[26:27], v[114:115]
	s_clause 0x1
	scratch_store_b64 off, v[118:119], off offset:188
	scratch_store_b64 off, v[116:117], off offset:180
	v_fma_f64 v[116:117], v[104:105], s[18:19], v[116:117]
	s_delay_alu instid0(VALU_DEP_1) | instskip(SKIP_2) | instid1(VALU_DEP_2)
	v_add_f64_e32 v[12:13], v[116:117], v[12:13]
	v_fma_f64 v[116:117], v[106:107], s[18:19], -v[118:119]
	v_mul_f64_e32 v[118:119], s[34:35], v[112:113]
	v_add_f64_e32 v[14:15], v[116:117], v[14:15]
	v_mul_f64_e32 v[116:117], s[34:35], v[114:115]
	s_clause 0x1
	scratch_store_b64 off, v[118:119], off offset:172
	scratch_store_b64 off, v[116:117], off offset:164
	v_fma_f64 v[116:117], v[104:105], s[22:23], v[116:117]
	s_delay_alu instid0(VALU_DEP_1) | instskip(SKIP_2) | instid1(VALU_DEP_2)
	v_add_f64_e32 v[16:17], v[116:117], v[16:17]
	v_fma_f64 v[116:117], v[106:107], s[22:23], -v[118:119]
	v_mul_f64_e32 v[118:119], s[50:51], v[112:113]
	v_add_f64_e32 v[18:19], v[116:117], v[18:19]
	v_mul_f64_e32 v[116:117], s[50:51], v[114:115]
	scratch_store_b64 off, v[116:117], off offset:148 ; 8-byte Folded Spill
	v_fma_f64 v[116:117], v[104:105], s[20:21], v[116:117]
	s_delay_alu instid0(VALU_DEP_1) | instskip(SKIP_1) | instid1(VALU_DEP_1)
	v_add_f64_e32 v[88:89], v[116:117], v[88:89]
	v_fma_f64 v[116:117], v[106:107], s[20:21], -v[118:119]
	v_add_f64_e32 v[90:91], v[116:117], v[90:91]
	v_mul_f64_e32 v[116:117], s[48:49], v[114:115]
	scratch_store_b64 off, v[118:119], off offset:156 ; 8-byte Folded Spill
	v_mul_f64_e32 v[118:119], s[48:49], v[112:113]
	scratch_store_b64 off, v[116:117], off offset:212 ; 8-byte Folded Spill
	v_fma_f64 v[116:117], v[104:105], s[16:17], v[116:117]
	scratch_store_b64 off, v[118:119], off offset:220 ; 8-byte Folded Spill
	v_add_f64_e32 v[92:93], v[116:117], v[92:93]
	v_fma_f64 v[116:117], v[106:107], s[16:17], -v[118:119]
	v_mul_f64_e32 v[118:119], s[28:29], v[112:113]
	v_mul_f64_e32 v[112:113], s[44:45], v[112:113]
	s_delay_alu instid0(VALU_DEP_3)
	v_add_f64_e32 v[94:95], v[116:117], v[94:95]
	v_mul_f64_e32 v[116:117], s[28:29], v[114:115]
	v_mul_f64_e32 v[114:115], s[44:45], v[114:115]
	s_clause 0x1
	scratch_store_b64 off, v[118:119], off offset:252
	scratch_store_b64 off, v[116:117], off offset:244
	v_fma_f64 v[116:117], v[104:105], s[10:11], v[116:117]
	s_delay_alu instid0(VALU_DEP_1) | instskip(SKIP_1) | instid1(VALU_DEP_1)
	v_add_f64_e32 v[96:97], v[116:117], v[96:97]
	v_fma_f64 v[116:117], v[106:107], s[10:11], -v[118:119]
	v_add_f64_e32 v[98:99], v[116:117], v[98:99]
	v_fma_f64 v[116:117], v[104:105], s[4:5], -v[114:115]
	v_fma_f64 v[114:115], v[104:105], s[4:5], v[114:115]
	s_delay_alu instid0(VALU_DEP_2) | instskip(SKIP_1) | instid1(VALU_DEP_3)
	v_add_f64_e32 v[100:101], v[116:117], v[100:101]
	v_fma_f64 v[116:117], v[106:107], s[4:5], v[112:113]
	v_add_f64_e32 v[2:3], v[114:115], v[2:3]
	v_fma_f64 v[112:113], v[106:107], s[4:5], -v[112:113]
	v_add_f64_e64 v[114:115], v[42:43], -v[34:35]
	s_delay_alu instid0(VALU_DEP_4) | instskip(NEXT) | instid1(VALU_DEP_3)
	v_add_f64_e32 v[102:103], v[116:117], v[102:103]
	v_add_f64_e32 v[0:1], v[112:113], v[0:1]
	v_add_f64_e64 v[112:113], v[40:41], -v[32:33]
	s_delay_alu instid0(VALU_DEP_4) | instskip(NEXT) | instid1(VALU_DEP_2)
	v_mul_f64_e32 v[116:117], s[36:37], v[114:115]
	v_mul_f64_e32 v[118:119], s[36:37], v[112:113]
	scratch_store_b64 off, v[116:117], off offset:228 ; 8-byte Folded Spill
	v_fma_f64 v[116:117], v[144:145], s[10:11], v[116:117]
	s_delay_alu instid0(VALU_DEP_1) | instskip(SKIP_1) | instid1(VALU_DEP_1)
	v_add_f64_e32 v[4:5], v[116:117], v[4:5]
	v_fma_f64 v[116:117], v[148:149], s[10:11], -v[118:119]
	v_add_f64_e32 v[6:7], v[116:117], v[6:7]
	v_mul_f64_e32 v[116:117], s[26:27], v[114:115]
	scratch_store_b64 off, v[118:119], off offset:236 ; 8-byte Folded Spill
	v_mul_f64_e32 v[118:119], s[26:27], v[112:113]
	scratch_store_b64 off, v[116:117], off offset:308 ; 8-byte Folded Spill
	v_fma_f64 v[116:117], v[144:145], s[18:19], v[116:117]
	scratch_store_b64 off, v[118:119], off offset:316 ; 8-byte Folded Spill
	v_add_f64_e32 v[8:9], v[116:117], v[8:9]
	v_fma_f64 v[116:117], v[148:149], s[18:19], -v[118:119]
	v_mul_f64_e32 v[118:119], s[38:39], v[112:113]
	s_delay_alu instid0(VALU_DEP_2)
	v_add_f64_e32 v[10:11], v[116:117], v[10:11]
	v_mul_f64_e32 v[116:117], s[38:39], v[114:115]
	s_mov_b32 s39, 0x3fe58eea
	s_mov_b32 s38, s46
	scratch_store_b64 off, v[118:119], off offset:300 ; 8-byte Folded Spill
	s_wait_alu 0xfffe
	v_mul_f64_e32 v[253:254], s[38:39], v[120:121]
	v_mul_f64_e32 v[199:200], s[38:39], v[165:166]
	;; [unrolled: 1-line block ×5, first 2 shown]
	scratch_store_b64 off, v[116:117], off offset:292 ; 8-byte Folded Spill
	v_fma_f64 v[116:117], v[144:145], s[22:23], v[116:117]
	v_fma_f64 v[122:123], v[209:210], s[6:7], v[253:254]
	s_delay_alu instid0(VALU_DEP_2) | instskip(SKIP_2) | instid1(VALU_DEP_2)
	v_add_f64_e32 v[12:13], v[116:117], v[12:13]
	v_fma_f64 v[116:117], v[148:149], s[22:23], -v[118:119]
	v_mul_f64_e32 v[118:119], s[48:49], v[112:113]
	v_add_f64_e32 v[14:15], v[116:117], v[14:15]
	v_mul_f64_e32 v[116:117], s[48:49], v[114:115]
	s_clause 0x1
	scratch_store_b64 off, v[118:119], off offset:284
	scratch_store_b64 off, v[116:117], off offset:276
	v_fma_f64 v[116:117], v[144:145], s[16:17], v[116:117]
	s_delay_alu instid0(VALU_DEP_1) | instskip(SKIP_2) | instid1(VALU_DEP_2)
	v_add_f64_e32 v[16:17], v[116:117], v[16:17]
	v_fma_f64 v[116:117], v[148:149], s[16:17], -v[118:119]
	v_mul_f64_e32 v[118:119], s[38:39], v[112:113]
	v_add_f64_e32 v[18:19], v[116:117], v[18:19]
	v_mul_f64_e32 v[116:117], s[38:39], v[114:115]
	scratch_store_b64 off, v[116:117], off offset:260 ; 8-byte Folded Spill
	v_fma_f64 v[116:117], v[144:145], s[6:7], v[116:117]
	s_delay_alu instid0(VALU_DEP_1) | instskip(SKIP_1) | instid1(VALU_DEP_1)
	v_add_f64_e32 v[88:89], v[116:117], v[88:89]
	v_fma_f64 v[116:117], v[148:149], s[6:7], -v[118:119]
	v_add_f64_e32 v[90:91], v[116:117], v[90:91]
	v_mul_f64_e32 v[116:117], s[40:41], v[114:115]
	scratch_store_b64 off, v[118:119], off offset:268 ; 8-byte Folded Spill
	v_mul_f64_e32 v[118:119], s[40:41], v[112:113]
	scratch_store_b64 off, v[116:117], off offset:332 ; 8-byte Folded Spill
	v_fma_f64 v[116:117], v[144:145], s[4:5], v[116:117]
	scratch_store_b64 off, v[118:119], off offset:340 ; 8-byte Folded Spill
	v_add_f64_e32 v[92:93], v[116:117], v[92:93]
	v_fma_f64 v[116:117], v[148:149], s[4:5], -v[118:119]
	v_mul_f64_e32 v[118:119], s[42:43], v[112:113]
	v_mul_f64_e32 v[112:113], s[30:31], v[112:113]
	s_delay_alu instid0(VALU_DEP_3)
	v_add_f64_e32 v[94:95], v[116:117], v[94:95]
	v_mul_f64_e32 v[116:117], s[42:43], v[114:115]
	v_mul_f64_e32 v[114:115], s[30:31], v[114:115]
	s_clause 0x1
	scratch_store_b64 off, v[118:119], off offset:364
	scratch_store_b64 off, v[116:117], off offset:356
	v_fma_f64 v[116:117], v[144:145], s[14:15], v[116:117]
	s_delay_alu instid0(VALU_DEP_1) | instskip(SKIP_1) | instid1(VALU_DEP_1)
	v_add_f64_e32 v[96:97], v[116:117], v[96:97]
	v_fma_f64 v[116:117], v[148:149], s[14:15], -v[118:119]
	v_add_f64_e32 v[98:99], v[116:117], v[98:99]
	v_fma_f64 v[116:117], v[144:145], s[20:21], -v[114:115]
	v_fma_f64 v[114:115], v[144:145], s[20:21], v[114:115]
	s_delay_alu instid0(VALU_DEP_2) | instskip(SKIP_1) | instid1(VALU_DEP_3)
	v_add_f64_e32 v[100:101], v[116:117], v[100:101]
	v_fma_f64 v[116:117], v[148:149], s[20:21], v[112:113]
	v_add_f64_e32 v[2:3], v[114:115], v[2:3]
	v_fma_f64 v[112:113], v[148:149], s[20:21], -v[112:113]
	v_add_f64_e64 v[114:115], v[46:47], -v[38:39]
	s_delay_alu instid0(VALU_DEP_4) | instskip(NEXT) | instid1(VALU_DEP_3)
	v_add_f64_e32 v[102:103], v[116:117], v[102:103]
	v_add_f64_e32 v[0:1], v[112:113], v[0:1]
	v_add_f64_e64 v[112:113], v[44:45], -v[36:37]
	s_delay_alu instid0(VALU_DEP_4) | instskip(NEXT) | instid1(VALU_DEP_2)
	v_mul_f64_e32 v[116:117], s[42:43], v[114:115]
	v_mul_f64_e32 v[118:119], s[42:43], v[112:113]
	scratch_store_b64 off, v[116:117], off offset:324 ; 8-byte Folded Spill
	v_fma_f64 v[116:117], v[177:178], s[14:15], v[116:117]
	v_mul_f64_e32 v[243:244], s[52:53], v[112:113]
	s_delay_alu instid0(VALU_DEP_2) | instskip(SKIP_1) | instid1(VALU_DEP_1)
	v_add_f64_e32 v[4:5], v[116:117], v[4:5]
	v_fma_f64 v[116:117], v[181:182], s[14:15], -v[118:119]
	v_add_f64_e32 v[6:7], v[116:117], v[6:7]
	v_mul_f64_e32 v[116:117], s[34:35], v[114:115]
	scratch_store_b64 off, v[118:119], off offset:348 ; 8-byte Folded Spill
	v_mul_f64_e32 v[118:119], s[34:35], v[112:113]
	scratch_store_b64 off, v[116:117], off offset:420 ; 8-byte Folded Spill
	v_fma_f64 v[116:117], v[177:178], s[22:23], v[116:117]
	scratch_store_b64 off, v[118:119], off offset:428 ; 8-byte Folded Spill
	v_add_f64_e32 v[8:9], v[116:117], v[8:9]
	v_fma_f64 v[116:117], v[181:182], s[22:23], -v[118:119]
	v_mul_f64_e32 v[118:119], s[48:49], v[112:113]
	s_delay_alu instid0(VALU_DEP_2)
	v_add_f64_e32 v[10:11], v[116:117], v[10:11]
	v_mul_f64_e32 v[116:117], s[48:49], v[114:115]
	s_clause 0x1
	scratch_store_b64 off, v[118:119], off offset:412
	scratch_store_b64 off, v[116:117], off offset:404
	v_fma_f64 v[116:117], v[177:178], s[16:17], v[116:117]
	s_delay_alu instid0(VALU_DEP_1) | instskip(SKIP_2) | instid1(VALU_DEP_3)
	v_add_f64_e32 v[12:13], v[116:117], v[12:13]
	v_fma_f64 v[116:117], v[181:182], s[16:17], -v[118:119]
	v_mul_f64_e32 v[118:119], s[44:45], v[112:113]
	v_add_f64_e32 v[12:13], v[122:123], v[12:13]
	s_delay_alu instid0(VALU_DEP_3)
	v_add_f64_e32 v[14:15], v[116:117], v[14:15]
	v_mul_f64_e32 v[116:117], s[44:45], v[114:115]
	s_clause 0x1
	scratch_store_b64 off, v[118:119], off offset:396
	scratch_store_b64 off, v[116:117], off offset:388
	v_fma_f64 v[116:117], v[177:178], s[4:5], v[116:117]
	s_delay_alu instid0(VALU_DEP_1) | instskip(SKIP_2) | instid1(VALU_DEP_2)
	v_add_f64_e32 v[16:17], v[116:117], v[16:17]
	v_fma_f64 v[116:117], v[181:182], s[4:5], -v[118:119]
	v_mul_f64_e32 v[118:119], s[36:37], v[112:113]
	v_add_f64_e32 v[18:19], v[116:117], v[18:19]
	v_mul_f64_e32 v[116:117], s[36:37], v[114:115]
	scratch_store_b64 off, v[116:117], off offset:372 ; 8-byte Folded Spill
	v_fma_f64 v[116:117], v[177:178], s[10:11], v[116:117]
	s_delay_alu instid0(VALU_DEP_1) | instskip(SKIP_1) | instid1(VALU_DEP_1)
	v_add_f64_e32 v[88:89], v[116:117], v[88:89]
	v_fma_f64 v[116:117], v[181:182], s[10:11], -v[118:119]
	v_add_f64_e32 v[90:91], v[116:117], v[90:91]
	v_mul_f64_e32 v[116:117], s[30:31], v[114:115]
	scratch_store_b64 off, v[118:119], off offset:380 ; 8-byte Folded Spill
	v_mul_f64_e32 v[118:119], s[30:31], v[112:113]
	v_mul_f64_e32 v[112:113], s[38:39], v[112:113]
	scratch_store_b64 off, v[116:117], off offset:452 ; 8-byte Folded Spill
	v_fma_f64 v[116:117], v[177:178], s[20:21], v[116:117]
	scratch_store_b64 off, v[118:119], off offset:460 ; 8-byte Folded Spill
	v_add_f64_e32 v[92:93], v[116:117], v[92:93]
	v_fma_f64 v[116:117], v[181:182], s[20:21], -v[118:119]
	v_add_f64_e64 v[118:119], v[60:61], -v[64:65]
	s_delay_alu instid0(VALU_DEP_2) | instskip(SKIP_2) | instid1(VALU_DEP_4)
	v_add_f64_e32 v[94:95], v[116:117], v[94:95]
	v_mul_f64_e32 v[116:117], s[52:53], v[114:115]
	v_mul_f64_e32 v[114:115], s[38:39], v[114:115]
	;; [unrolled: 1-line block ×4, first 2 shown]
	s_mov_b32 s37, 0x3fefdd0d
	s_mov_b32 s36, s42
	v_mul_f64_e32 v[132:133], s[40:41], v[118:119]
	s_wait_alu 0xfffe
	v_mul_f64_e32 v[124:125], s[36:37], v[118:119]
	scratch_store_b64 off, v[116:117], off offset:468 ; 8-byte Folded Spill
	v_fma_f64 v[116:117], v[177:178], s[18:19], v[116:117]
	s_delay_alu instid0(VALU_DEP_1) | instskip(SKIP_1) | instid1(VALU_DEP_1)
	v_add_f64_e32 v[96:97], v[116:117], v[96:97]
	v_fma_f64 v[116:117], v[181:182], s[18:19], -v[243:244]
	v_add_f64_e32 v[98:99], v[116:117], v[98:99]
	v_fma_f64 v[116:117], v[177:178], s[6:7], -v[114:115]
	v_fma_f64 v[114:115], v[177:178], s[6:7], v[114:115]
	s_delay_alu instid0(VALU_DEP_2) | instskip(SKIP_2) | instid1(VALU_DEP_4)
	v_add_f64_e32 v[100:101], v[116:117], v[100:101]
	v_fma_f64 v[116:117], v[181:182], s[6:7], v[112:113]
	v_fma_f64 v[112:113], v[181:182], s[6:7], -v[112:113]
	v_add_f64_e32 v[2:3], v[114:115], v[2:3]
	v_mul_f64_e32 v[114:115], s[24:25], v[118:119]
	s_delay_alu instid0(VALU_DEP_4) | instskip(NEXT) | instid1(VALU_DEP_4)
	v_add_f64_e32 v[102:103], v[116:117], v[102:103]
	v_add_f64_e32 v[0:1], v[112:113], v[0:1]
	v_mul_f64_e32 v[112:113], s[24:25], v[120:121]
	scratch_store_b64 off, v[114:115], off offset:444 ; 8-byte Folded Spill
	v_mul_f64_e32 v[116:117], s[50:51], v[118:119]
	scratch_store_b64 off, v[112:113], off offset:436 ; 8-byte Folded Spill
	v_fma_f64 v[112:113], v[209:210], s[16:17], v[112:113]
	global_wb scope:SCOPE_SE
	s_wait_storecnt 0x0
	s_wait_kmcnt 0x0
	s_barrier_signal -1
	s_barrier_wait -1
	global_inv scope:SCOPE_SE
	v_add_f64_e32 v[4:5], v[112:113], v[4:5]
	v_fma_f64 v[112:113], v[211:212], s[16:17], -v[114:115]
	v_mul_f64_e32 v[114:115], s[50:51], v[120:121]
	s_delay_alu instid0(VALU_DEP_2) | instskip(NEXT) | instid1(VALU_DEP_2)
	v_add_f64_e32 v[6:7], v[112:113], v[6:7]
	v_fma_f64 v[112:113], v[209:210], s[20:21], v[114:115]
	s_delay_alu instid0(VALU_DEP_1) | instskip(SKIP_1) | instid1(VALU_DEP_1)
	v_add_f64_e32 v[8:9], v[112:113], v[8:9]
	v_fma_f64 v[112:113], v[211:212], s[20:21], -v[116:117]
	v_add_f64_e32 v[10:11], v[112:113], v[10:11]
	v_mul_f64_e32 v[112:113], s[38:39], v[118:119]
	v_mul_f64_e32 v[118:119], s[26:27], v[118:119]
	s_delay_alu instid0(VALU_DEP_2) | instskip(NEXT) | instid1(VALU_DEP_1)
	v_fma_f64 v[122:123], v[211:212], s[6:7], -v[112:113]
	v_add_f64_e32 v[14:15], v[122:123], v[14:15]
	v_fma_f64 v[122:123], v[209:210], s[10:11], v[249:250]
	s_delay_alu instid0(VALU_DEP_1) | instskip(SKIP_1) | instid1(VALU_DEP_1)
	v_add_f64_e32 v[16:17], v[122:123], v[16:17]
	v_fma_f64 v[122:123], v[211:212], s[10:11], -v[235:236]
	v_add_f64_e32 v[18:19], v[122:123], v[18:19]
	v_fma_f64 v[122:123], v[209:210], s[22:23], v[245:246]
	s_delay_alu instid0(VALU_DEP_1) | instskip(SKIP_1) | instid1(VALU_DEP_1)
	v_add_f64_e32 v[88:89], v[122:123], v[88:89]
	v_fma_f64 v[122:123], v[211:212], s[22:23], -v[247:248]
	v_add_f64_e32 v[90:91], v[122:123], v[90:91]
	v_mul_f64_e32 v[122:123], s[36:37], v[120:121]
	v_mul_f64_e32 v[120:121], s[26:27], v[120:121]
	s_delay_alu instid0(VALU_DEP_2) | instskip(NEXT) | instid1(VALU_DEP_1)
	v_fma_f64 v[126:127], v[209:210], s[14:15], v[122:123]
	v_add_f64_e32 v[92:93], v[126:127], v[92:93]
	v_fma_f64 v[126:127], v[211:212], s[14:15], -v[124:125]
	s_delay_alu instid0(VALU_DEP_1) | instskip(SKIP_1) | instid1(VALU_DEP_1)
	v_add_f64_e32 v[94:95], v[126:127], v[94:95]
	v_fma_f64 v[126:127], v[209:210], s[4:5], v[130:131]
	v_add_f64_e32 v[96:97], v[126:127], v[96:97]
	v_fma_f64 v[126:127], v[211:212], s[4:5], -v[132:133]
	s_delay_alu instid0(VALU_DEP_1) | instskip(SKIP_2) | instid1(VALU_DEP_2)
	v_add_f64_e32 v[98:99], v[126:127], v[98:99]
	v_fma_f64 v[126:127], v[209:210], s[18:19], -v[120:121]
	v_fma_f64 v[120:121], v[209:210], s[18:19], v[120:121]
	v_add_f64_e32 v[100:101], v[126:127], v[100:101]
	v_fma_f64 v[126:127], v[211:212], s[18:19], v[118:119]
	v_fma_f64 v[118:119], v[211:212], s[18:19], -v[118:119]
	s_delay_alu instid0(VALU_DEP_4) | instskip(NEXT) | instid1(VALU_DEP_3)
	v_add_f64_e32 v[2:3], v[120:121], v[2:3]
	v_add_f64_e32 v[102:103], v[126:127], v[102:103]
	s_delay_alu instid0(VALU_DEP_3) | instskip(SKIP_2) | instid1(VALU_DEP_2)
	v_add_f64_e32 v[0:1], v[118:119], v[0:1]
	v_add_f64_e64 v[126:127], v[68:69], -v[80:81]
	v_mul_f64_e32 v[118:119], s[26:27], v[128:129]
	v_mul_f64_e32 v[120:121], s[26:27], v[126:127]
	s_delay_alu instid0(VALU_DEP_2)
	v_fma_f64 v[134:135], v[239:240], s[18:19], v[118:119]
	v_mul_f64_e32 v[152:153], s[48:49], v[126:127]
	v_mul_f64_e32 v[146:147], s[40:41], v[126:127]
	v_mul_f64_e32 v[140:141], s[30:31], v[126:127]
	v_mul_f64_e32 v[136:137], s[36:37], v[126:127]
	v_mul_f64_e32 v[161:162], s[46:47], v[126:127]
	v_mul_f64_e32 v[173:174], s[34:35], v[126:127]
	v_mul_f64_e32 v[126:127], s[28:29], v[126:127]
	v_add_f64_e32 v[4:5], v[134:135], v[4:5]
	v_fma_f64 v[134:135], v[241:242], s[18:19], -v[120:121]
	s_delay_alu instid0(VALU_DEP_1) | instskip(SKIP_1) | instid1(VALU_DEP_1)
	v_add_f64_e32 v[6:7], v[134:135], v[6:7]
	v_fma_f64 v[134:135], v[239:240], s[16:17], v[150:151]
	v_add_f64_e32 v[8:9], v[134:135], v[8:9]
	v_fma_f64 v[134:135], v[241:242], s[16:17], -v[152:153]
	s_delay_alu instid0(VALU_DEP_1) | instskip(SKIP_1) | instid1(VALU_DEP_1)
	v_add_f64_e32 v[10:11], v[134:135], v[10:11]
	v_fma_f64 v[134:135], v[239:240], s[4:5], v[142:143]
	v_add_f64_e32 v[12:13], v[134:135], v[12:13]
	v_fma_f64 v[134:135], v[241:242], s[4:5], -v[146:147]
	s_delay_alu instid0(VALU_DEP_1) | instskip(SKIP_1) | instid1(VALU_DEP_1)
	v_add_f64_e32 v[14:15], v[134:135], v[14:15]
	v_fma_f64 v[134:135], v[239:240], s[20:21], v[138:139]
	v_add_f64_e32 v[16:17], v[134:135], v[16:17]
	v_fma_f64 v[134:135], v[241:242], s[20:21], -v[140:141]
	s_delay_alu instid0(VALU_DEP_1) | instskip(SKIP_2) | instid1(VALU_DEP_2)
	v_add_f64_e32 v[18:19], v[134:135], v[18:19]
	v_mul_f64_e32 v[134:135], s[36:37], v[128:129]
	v_mul_f64_e32 v[128:129], s[28:29], v[128:129]
	v_fma_f64 v[154:155], v[239:240], s[14:15], v[134:135]
	s_delay_alu instid0(VALU_DEP_1) | instskip(SKIP_1) | instid1(VALU_DEP_1)
	v_add_f64_e32 v[88:89], v[154:155], v[88:89]
	v_fma_f64 v[154:155], v[241:242], s[14:15], -v[136:137]
	v_add_f64_e32 v[90:91], v[154:155], v[90:91]
	v_fma_f64 v[154:155], v[239:240], s[6:7], v[159:160]
	s_delay_alu instid0(VALU_DEP_1) | instskip(SKIP_1) | instid1(VALU_DEP_1)
	v_add_f64_e32 v[92:93], v[154:155], v[92:93]
	v_fma_f64 v[154:155], v[241:242], s[6:7], -v[161:162]
	v_add_f64_e32 v[94:95], v[154:155], v[94:95]
	;; [unrolled: 5-line block ×3, first 2 shown]
	v_fma_f64 v[154:155], v[239:240], s[10:11], -v[128:129]
	v_fma_f64 v[128:129], v[239:240], s[10:11], v[128:129]
	s_delay_alu instid0(VALU_DEP_2) | instskip(SKIP_2) | instid1(VALU_DEP_4)
	v_add_f64_e32 v[100:101], v[154:155], v[100:101]
	v_fma_f64 v[154:155], v[241:242], s[10:11], v[126:127]
	v_fma_f64 v[126:127], v[241:242], s[10:11], -v[126:127]
	v_add_f64_e32 v[2:3], v[128:129], v[2:3]
	v_add_f64_e32 v[128:129], v[58:59], v[86:87]
	s_delay_alu instid0(VALU_DEP_4) | instskip(NEXT) | instid1(VALU_DEP_4)
	v_add_f64_e32 v[102:103], v[154:155], v[102:103]
	v_add_f64_e32 v[0:1], v[126:127], v[0:1]
	;; [unrolled: 1-line block ×3, first 2 shown]
	v_mul_f64_e32 v[154:155], s[30:31], v[165:166]
	s_delay_alu instid0(VALU_DEP_1) | instskip(NEXT) | instid1(VALU_DEP_1)
	v_fma_f64 v[167:168], v[126:127], s[20:21], v[154:155]
	v_add_f64_e32 v[4:5], v[167:168], v[4:5]
	v_fma_f64 v[167:168], v[128:129], s[20:21], -v[157:158]
	s_delay_alu instid0(VALU_DEP_1) | instskip(SKIP_1) | instid1(VALU_DEP_1)
	v_add_f64_e32 v[6:7], v[167:168], v[6:7]
	v_fma_f64 v[167:168], v[126:127], s[10:11], v[187:188]
	v_add_f64_e32 v[207:208], v[167:168], v[8:9]
	v_fma_f64 v[8:9], v[128:129], s[10:11], -v[189:190]
	v_mul_f64_e32 v[167:168], s[40:41], v[165:166]
	v_mul_f64_e32 v[165:166], s[24:25], v[165:166]
	s_delay_alu instid0(VALU_DEP_3) | instskip(SKIP_2) | instid1(VALU_DEP_2)
	v_add_f64_e32 v[213:214], v[8:9], v[10:11]
	v_fma_f64 v[8:9], v[126:127], s[14:15], v[183:184]
	v_fma_f64 v[10:11], v[128:129], s[14:15], -v[185:186]
	v_add_f64_e32 v[8:9], v[8:9], v[12:13]
	v_fma_f64 v[12:13], v[126:127], s[18:19], v[175:176]
	s_delay_alu instid0(VALU_DEP_3) | instskip(SKIP_1) | instid1(VALU_DEP_3)
	v_add_f64_e32 v[10:11], v[10:11], v[14:15]
	v_fma_f64 v[14:15], v[128:129], s[18:19], -v[179:180]
	v_add_f64_e32 v[12:13], v[12:13], v[16:17]
	v_fma_f64 v[16:17], v[126:127], s[4:5], v[167:168]
	s_delay_alu instid0(VALU_DEP_3) | instskip(SKIP_1) | instid1(VALU_DEP_3)
	v_add_f64_e32 v[14:15], v[14:15], v[18:19]
	v_fma_f64 v[18:19], v[128:129], s[4:5], -v[171:172]
	v_add_f64_e32 v[16:17], v[16:17], v[88:89]
	v_fma_f64 v[88:89], v[126:127], s[22:23], v[191:192]
	s_delay_alu instid0(VALU_DEP_3) | instskip(SKIP_1) | instid1(VALU_DEP_3)
	v_add_f64_e32 v[18:19], v[18:19], v[90:91]
	v_fma_f64 v[90:91], v[128:129], s[22:23], -v[195:196]
	v_add_f64_e32 v[88:89], v[88:89], v[92:93]
	v_fma_f64 v[92:93], v[126:127], s[6:7], v[199:200]
	s_delay_alu instid0(VALU_DEP_3) | instskip(SKIP_1) | instid1(VALU_DEP_3)
	v_add_f64_e32 v[90:91], v[90:91], v[94:95]
	v_fma_f64 v[94:95], v[128:129], s[6:7], -v[201:202]
	v_add_f64_e32 v[92:93], v[92:93], v[96:97]
	v_fma_f64 v[96:97], v[126:127], s[16:17], -v[165:166]
	s_delay_alu instid0(VALU_DEP_3) | instskip(SKIP_1) | instid1(VALU_DEP_3)
	v_add_f64_e32 v[94:95], v[94:95], v[98:99]
	v_fma_f64 v[98:99], v[128:129], s[16:17], v[163:164]
	v_add_f64_e32 v[96:97], v[96:97], v[100:101]
	v_fma_f64 v[100:101], v[126:127], s[16:17], v[165:166]
	s_delay_alu instid0(VALU_DEP_3) | instskip(SKIP_1) | instid1(VALU_DEP_3)
	v_add_f64_e32 v[98:99], v[98:99], v[102:103]
	v_add_f64_e32 v[165:166], v[74:75], v[78:79]
	;; [unrolled: 1-line block ×3, first 2 shown]
	v_fma_f64 v[2:3], v[128:129], s[16:17], -v[163:164]
	v_add_f64_e32 v[163:164], v[72:73], v[76:77]
	s_delay_alu instid0(VALU_DEP_2) | instskip(NEXT) | instid1(VALU_DEP_2)
	v_add_f64_e32 v[102:103], v[2:3], v[0:1]
	v_fma_f64 v[0:1], v[163:164], s[22:23], v[193:194]
	v_fma_f64 v[2:3], v[165:166], s[22:23], -v[197:198]
	s_delay_alu instid0(VALU_DEP_2) | instskip(SKIP_1) | instid1(VALU_DEP_3)
	v_add_f64_e32 v[0:1], v[0:1], v[4:5]
	v_fma_f64 v[4:5], v[163:164], s[4:5], v[203:204]
	v_add_f64_e32 v[2:3], v[2:3], v[6:7]
	v_fma_f64 v[6:7], v[165:166], s[4:5], -v[205:206]
	s_delay_alu instid0(VALU_DEP_3) | instskip(SKIP_1) | instid1(VALU_DEP_3)
	v_add_f64_e32 v[4:5], v[4:5], v[207:208]
	v_mul_f64_e32 v[207:208], s[30:31], v[233:234]
	v_add_f64_e32 v[6:7], v[6:7], v[213:214]
	v_mul_f64_e32 v[213:214], s[30:31], v[227:228]
	v_mul_f64_e32 v[227:228], s[36:37], v[227:228]
	s_delay_alu instid0(VALU_DEP_4) | instskip(NEXT) | instid1(VALU_DEP_1)
	v_fma_f64 v[215:216], v[163:164], s[20:21], v[207:208]
	v_add_f64_e32 v[8:9], v[215:216], v[8:9]
	s_delay_alu instid0(VALU_DEP_4) | instskip(NEXT) | instid1(VALU_DEP_1)
	v_fma_f64 v[215:216], v[165:166], s[20:21], -v[213:214]
	v_add_f64_e32 v[10:11], v[215:216], v[10:11]
	v_mul_f64_e32 v[215:216], s[38:39], v[233:234]
	s_delay_alu instid0(VALU_DEP_1) | instskip(NEXT) | instid1(VALU_DEP_1)
	v_fma_f64 v[219:220], v[163:164], s[6:7], v[215:216]
	v_add_f64_e32 v[12:13], v[219:220], v[12:13]
	v_fma_f64 v[219:220], v[165:166], s[6:7], -v[217:218]
	s_delay_alu instid0(VALU_DEP_1) | instskip(SKIP_1) | instid1(VALU_DEP_1)
	v_add_f64_e32 v[14:15], v[219:220], v[14:15]
	v_mul_f64_e32 v[219:220], s[26:27], v[233:234]
	v_fma_f64 v[223:224], v[163:164], s[18:19], v[219:220]
	s_delay_alu instid0(VALU_DEP_1) | instskip(SKIP_1) | instid1(VALU_DEP_1)
	v_add_f64_e32 v[16:17], v[223:224], v[16:17]
	v_fma_f64 v[223:224], v[165:166], s[18:19], -v[221:222]
	v_add_f64_e32 v[18:19], v[223:224], v[18:19]
	v_mul_f64_e32 v[223:224], s[28:29], v[233:234]
	s_delay_alu instid0(VALU_DEP_1) | instskip(NEXT) | instid1(VALU_DEP_1)
	v_fma_f64 v[229:230], v[163:164], s[10:11], v[223:224]
	v_add_f64_e32 v[88:89], v[229:230], v[88:89]
	v_fma_f64 v[229:230], v[165:166], s[10:11], -v[225:226]
	s_delay_alu instid0(VALU_DEP_1) | instskip(SKIP_2) | instid1(VALU_DEP_2)
	v_add_f64_e32 v[90:91], v[229:230], v[90:91]
	v_mul_f64_e32 v[229:230], s[24:25], v[233:234]
	v_mul_f64_e32 v[233:234], s[36:37], v[233:234]
	v_fma_f64 v[251:252], v[163:164], s[16:17], v[229:230]
	s_delay_alu instid0(VALU_DEP_1) | instskip(SKIP_1) | instid1(VALU_DEP_1)
	v_add_f64_e32 v[92:93], v[251:252], v[92:93]
	v_fma_f64 v[251:252], v[165:166], s[16:17], -v[231:232]
	v_add_f64_e32 v[94:95], v[251:252], v[94:95]
	v_fma_f64 v[251:252], v[163:164], s[14:15], -v[233:234]
	v_fma_f64 v[233:234], v[163:164], s[14:15], v[233:234]
	s_delay_alu instid0(VALU_DEP_2) | instskip(SKIP_2) | instid1(VALU_DEP_4)
	v_add_f64_e32 v[96:97], v[251:252], v[96:97]
	v_fma_f64 v[251:252], v[165:166], s[14:15], v[227:228]
	v_fma_f64 v[227:228], v[165:166], s[14:15], -v[227:228]
	v_add_f64_e32 v[100:101], v[233:234], v[100:101]
	s_delay_alu instid0(VALU_DEP_3) | instskip(NEXT) | instid1(VALU_DEP_3)
	v_add_f64_e32 v[98:99], v[251:252], v[98:99]
	v_add_f64_e32 v[102:103], v[227:228], v[102:103]
	scratch_load_b32 v227, off, off offset:4 ; 4-byte Folded Reload
	s_wait_loadcnt 0x0
	v_mul_lo_u16 v228, v227, 17
	scratch_store_b32 off, v228, off offset:32 ; 4-byte Folded Spill
	s_and_saveexec_b32 s24, vcc_lo
	s_cbranch_execz .LBB0_7
; %bb.6:
	v_add_f64_e32 v[50:51], v[22:23], v[50:51]
	v_add_f64_e32 v[48:49], v[20:21], v[48:49]
	s_delay_alu instid0(VALU_DEP_2) | instskip(NEXT) | instid1(VALU_DEP_2)
	v_add_f64_e32 v[50:51], v[54:55], v[50:51]
	v_add_f64_e32 v[48:49], v[52:53], v[48:49]
	s_clause 0x1
	scratch_load_b64 v[52:53], off, off offset:36 th:TH_LOAD_LU
	scratch_load_b64 v[54:55], off, off offset:16 th:TH_LOAD_LU
	v_add_f64_e32 v[42:43], v[42:43], v[50:51]
	v_add_f64_e32 v[40:41], v[40:41], v[48:49]
	s_clause 0x1
	scratch_load_b64 v[50:51], off, off offset:44 th:TH_LOAD_LU
	scratch_load_b64 v[48:49], off, off offset:52 th:TH_LOAD_LU
	;; [unrolled: 5-line block ×4, first 2 shown]
	v_add_f64_e32 v[42:43], v[70:71], v[42:43]
	v_add_f64_e32 v[40:41], v[68:69], v[40:41]
	scratch_load_b64 v[68:69], off, off offset:244 th:TH_LOAD_LU ; 8-byte Folded Reload
	v_add_f64_e32 v[42:43], v[58:59], v[42:43]
	v_add_f64_e32 v[40:41], v[56:57], v[40:41]
	scratch_load_b64 v[56:57], off, off offset:8 th:TH_LOAD_LU ; 8-byte Folded Reload
	v_add_f64_e32 v[42:43], v[74:75], v[42:43]
	v_add_f64_e32 v[40:41], v[72:73], v[40:41]
	s_delay_alu instid0(VALU_DEP_2) | instskip(NEXT) | instid1(VALU_DEP_2)
	v_add_f64_e32 v[42:43], v[78:79], v[42:43]
	v_add_f64_e32 v[40:41], v[76:77], v[40:41]
	s_delay_alu instid0(VALU_DEP_2) | instskip(NEXT) | instid1(VALU_DEP_2)
	;; [unrolled: 3-line block ×4, first 2 shown]
	v_add_f64_e32 v[42:43], v[66:67], v[42:43]
	v_add_f64_e32 v[40:41], v[64:65], v[40:41]
	v_mul_f64_e32 v[66:67], s[10:11], v[104:105]
	v_mul_f64_e32 v[64:65], s[4:5], v[209:210]
	s_delay_alu instid0(VALU_DEP_4) | instskip(NEXT) | instid1(VALU_DEP_4)
	v_add_f64_e32 v[38:39], v[38:39], v[42:43]
	v_add_f64_e32 v[36:37], v[36:37], v[40:41]
	s_clause 0x1
	scratch_load_b64 v[40:41], off, off offset:84 th:TH_LOAD_LU
	scratch_load_b64 v[42:43], off, off offset:76 th:TH_LOAD_LU
	v_add_f64_e64 v[64:65], v[64:65], -v[130:131]
	v_add_f64_e32 v[34:35], v[34:35], v[38:39]
	v_add_f64_e32 v[32:33], v[32:33], v[36:37]
	s_clause 0x1
	scratch_load_b64 v[36:37], off, off offset:100 th:TH_LOAD_LU
	scratch_load_b64 v[38:39], off, off offset:92 th:TH_LOAD_LU
	s_wait_loadcnt 0x5
	v_add_f64_e64 v[66:67], v[66:67], -v[68:69]
	v_mul_f64_e32 v[68:69], s[14:15], v[144:145]
	v_add_f64_e32 v[30:31], v[30:31], v[34:35]
	v_add_f64_e32 v[28:29], v[28:29], v[32:33]
	s_clause 0x1
	scratch_load_b64 v[32:33], off, off offset:132 th:TH_LOAD_LU
	scratch_load_b64 v[34:35], off, off offset:108 th:TH_LOAD_LU
	v_add_f64_e32 v[26:27], v[26:27], v[30:31]
	scratch_load_b64 v[30:31], off, off offset:140 th:TH_LOAD_LU ; 8-byte Folded Reload
	v_add_f64_e32 v[24:25], v[24:25], v[28:29]
	v_mul_f64_e32 v[28:29], s[20:21], v[110:111]
	s_wait_loadcnt 0x0
	s_delay_alu instid0(VALU_DEP_1) | instskip(SKIP_1) | instid1(VALU_DEP_2)
	v_add_f64_e32 v[28:29], v[30:31], v[28:29]
	v_mul_f64_e32 v[30:31], s[20:21], v[108:109]
	v_add_f64_e32 v[28:29], v[22:23], v[28:29]
	s_delay_alu instid0(VALU_DEP_2) | instskip(SKIP_1) | instid1(VALU_DEP_2)
	v_add_f64_e64 v[30:31], v[30:31], -v[32:33]
	v_mul_f64_e32 v[32:33], s[18:19], v[110:111]
	v_add_f64_e32 v[30:31], v[20:21], v[30:31]
	s_delay_alu instid0(VALU_DEP_2) | instskip(SKIP_1) | instid1(VALU_DEP_3)
	v_add_f64_e32 v[32:33], v[34:35], v[32:33]
	v_mul_f64_e32 v[34:35], s[18:19], v[108:109]
	v_add_f64_e32 v[30:31], v[66:67], v[30:31]
	scratch_load_b64 v[66:67], off, off offset:468 th:TH_LOAD_LU ; 8-byte Folded Reload
	v_add_f64_e64 v[34:35], v[34:35], -v[36:37]
	v_mul_f64_e32 v[36:37], s[16:17], v[110:111]
	scratch_load_b64 v[70:71], off, off offset:356 th:TH_LOAD_LU ; 8-byte Folded Reload
	v_add_f64_e32 v[32:33], v[22:23], v[32:33]
	v_add_f64_e32 v[34:35], v[20:21], v[34:35]
	;; [unrolled: 1-line block ×3, first 2 shown]
	v_mul_f64_e32 v[38:39], s[16:17], v[108:109]
	s_delay_alu instid0(VALU_DEP_1) | instskip(SKIP_1) | instid1(VALU_DEP_2)
	v_add_f64_e64 v[38:39], v[38:39], -v[40:41]
	v_mul_f64_e32 v[40:41], s[14:15], v[110:111]
	v_add_f64_e32 v[58:59], v[20:21], v[38:39]
	s_delay_alu instid0(VALU_DEP_2) | instskip(SKIP_1) | instid1(VALU_DEP_2)
	v_add_f64_e32 v[40:41], v[42:43], v[40:41]
	v_mul_f64_e32 v[42:43], s[14:15], v[108:109]
	v_add_f64_e32 v[40:41], v[22:23], v[40:41]
	s_delay_alu instid0(VALU_DEP_2) | instskip(SKIP_1) | instid1(VALU_DEP_2)
	v_add_f64_e64 v[42:43], v[42:43], -v[44:45]
	v_mul_f64_e32 v[44:45], s[10:11], v[110:111]
	v_add_f64_e32 v[42:43], v[20:21], v[42:43]
	s_delay_alu instid0(VALU_DEP_2) | instskip(SKIP_1) | instid1(VALU_DEP_1)
	v_add_f64_e32 v[44:45], v[46:47], v[44:45]
	v_mul_f64_e32 v[46:47], s[10:11], v[108:109]
	v_add_f64_e64 v[46:47], v[46:47], -v[48:49]
	v_mul_f64_e32 v[48:49], s[6:7], v[110:111]
	s_delay_alu instid0(VALU_DEP_2) | instskip(NEXT) | instid1(VALU_DEP_2)
	v_add_f64_e32 v[38:39], v[20:21], v[46:47]
	v_add_f64_e32 v[48:49], v[50:51], v[48:49]
	v_mul_f64_e32 v[50:51], s[6:7], v[108:109]
	s_delay_alu instid0(VALU_DEP_1) | instskip(SKIP_3) | instid1(VALU_DEP_3)
	v_add_f64_e64 v[50:51], v[50:51], -v[52:53]
	v_mul_f64_e32 v[52:53], s[4:5], v[110:111]
	s_wait_loadcnt 0x0
	v_add_f64_e64 v[68:69], v[68:69], -v[70:71]
	v_add_f64_e32 v[46:47], v[20:21], v[50:51]
	s_delay_alu instid0(VALU_DEP_3) | instskip(SKIP_1) | instid1(VALU_DEP_4)
	v_add_f64_e32 v[52:53], v[54:55], v[52:53]
	v_mul_f64_e32 v[54:55], s[4:5], v[108:109]
	v_add_f64_e32 v[30:31], v[68:69], v[30:31]
	s_delay_alu instid0(VALU_DEP_2)
	v_add_f64_e64 v[54:55], v[54:55], -v[56:57]
	v_add_f64_e32 v[56:57], v[22:23], v[36:37]
	v_add_f64_e32 v[36:37], v[22:23], v[44:45]
	;; [unrolled: 1-line block ×4, first 2 shown]
	v_mul_f64_e32 v[52:53], s[18:19], v[181:182]
	v_mul_f64_e32 v[22:23], s[4:5], v[211:212]
	v_add_f64_e32 v[50:51], v[20:21], v[54:55]
	v_mul_f64_e32 v[54:55], s[14:15], v[148:149]
	v_mul_f64_e32 v[20:21], s[22:23], v[241:242]
	v_add_f64_e32 v[52:53], v[243:244], v[52:53]
	v_add_f64_e32 v[22:23], v[132:133], v[22:23]
	s_delay_alu instid0(VALU_DEP_4) | instskip(SKIP_2) | instid1(VALU_DEP_2)
	v_add_f64_e32 v[54:55], v[60:61], v[54:55]
	v_mul_f64_e32 v[60:61], s[10:11], v[106:107]
	v_add_f64_e32 v[20:21], v[173:174], v[20:21]
	v_add_f64_e32 v[60:61], v[62:63], v[60:61]
	v_mul_f64_e32 v[62:63], s[22:23], v[239:240]
	s_delay_alu instid0(VALU_DEP_2) | instskip(SKIP_1) | instid1(VALU_DEP_3)
	v_add_f64_e32 v[28:29], v[60:61], v[28:29]
	v_mul_f64_e32 v[60:61], s[18:19], v[177:178]
	v_add_f64_e64 v[62:63], v[62:63], -v[169:170]
	s_delay_alu instid0(VALU_DEP_3) | instskip(NEXT) | instid1(VALU_DEP_3)
	v_add_f64_e32 v[28:29], v[54:55], v[28:29]
	v_add_f64_e64 v[60:61], v[60:61], -v[66:67]
	v_mul_f64_e32 v[54:55], s[6:7], v[128:129]
	s_clause 0x1
	scratch_load_b64 v[66:67], off, off offset:332 th:TH_LOAD_LU
	scratch_load_b64 v[68:69], off, off offset:212 th:TH_LOAD_LU
	v_add_f64_e32 v[28:29], v[52:53], v[28:29]
	v_add_f64_e32 v[30:31], v[60:61], v[30:31]
	v_mul_f64_e32 v[52:53], s[6:7], v[126:127]
	v_add_f64_e32 v[54:55], v[201:202], v[54:55]
	scratch_load_b64 v[60:61], off, off offset:220 th:TH_LOAD_LU ; 8-byte Folded Reload
	v_add_f64_e32 v[22:23], v[22:23], v[28:29]
	v_add_f64_e32 v[28:29], v[64:65], v[30:31]
	v_add_f64_e64 v[52:53], v[52:53], -v[199:200]
	v_mul_f64_e32 v[30:31], s[16:17], v[165:166]
	scratch_load_b64 v[64:65], off, off offset:452 th:TH_LOAD_LU ; 8-byte Folded Reload
	v_add_f64_e32 v[20:21], v[20:21], v[22:23]
	v_add_f64_e32 v[22:23], v[62:63], v[28:29]
	v_mul_f64_e32 v[28:29], s[16:17], v[163:164]
	v_add_f64_e32 v[30:31], v[231:232], v[30:31]
	v_mul_f64_e32 v[62:63], s[20:21], v[177:178]
	v_add_f64_e32 v[20:21], v[54:55], v[20:21]
	v_add_f64_e32 v[52:53], v[52:53], v[22:23]
	v_add_f64_e64 v[28:29], v[28:29], -v[229:230]
	scratch_load_b64 v[54:55], off, off offset:340 th:TH_LOAD_LU ; 8-byte Folded Reload
	v_add_f64_e32 v[22:23], v[30:31], v[20:21]
	v_mul_f64_e32 v[30:31], s[20:21], v[181:182]
	v_add_f64_e32 v[20:21], v[28:29], v[52:53]
	scratch_load_b64 v[52:53], off, off offset:460 th:TH_LOAD_LU ; 8-byte Folded Reload
	v_mul_f64_e32 v[28:29], s[14:15], v[211:212]
	s_delay_alu instid0(VALU_DEP_1) | instskip(SKIP_3) | instid1(VALU_DEP_1)
	v_add_f64_e32 v[28:29], v[124:125], v[28:29]
	s_wait_loadcnt 0x2
	v_add_f64_e64 v[62:63], v[62:63], -v[64:65]
	v_mul_f64_e32 v[64:65], s[4:5], v[144:145]
	v_add_f64_e64 v[64:65], v[64:65], -v[66:67]
	v_mul_f64_e32 v[66:67], s[16:17], v[104:105]
	s_delay_alu instid0(VALU_DEP_1) | instskip(SKIP_4) | instid1(VALU_DEP_4)
	v_add_f64_e64 v[66:67], v[66:67], -v[68:69]
	v_mul_f64_e32 v[68:69], s[6:7], v[241:242]
	s_wait_loadcnt 0x0
	v_add_f64_e32 v[30:31], v[52:53], v[30:31]
	v_mul_f64_e32 v[52:53], s[4:5], v[148:149]
	v_add_f64_e32 v[34:35], v[66:67], v[34:35]
	s_delay_alu instid0(VALU_DEP_4) | instskip(SKIP_1) | instid1(VALU_DEP_4)
	v_add_f64_e32 v[68:69], v[161:162], v[68:69]
	v_mul_f64_e32 v[66:67], s[20:21], v[209:210]
	v_add_f64_e32 v[52:53], v[54:55], v[52:53]
	v_mul_f64_e32 v[54:55], s[16:17], v[106:107]
	v_add_f64_e32 v[34:35], v[64:65], v[34:35]
	s_delay_alu instid0(VALU_DEP_4) | instskip(NEXT) | instid1(VALU_DEP_3)
	v_add_f64_e64 v[66:67], v[66:67], -v[114:115]
	v_add_f64_e32 v[54:55], v[60:61], v[54:55]
	v_mul_f64_e32 v[60:61], s[14:15], v[209:210]
	s_delay_alu instid0(VALU_DEP_2) | instskip(NEXT) | instid1(VALU_DEP_2)
	v_add_f64_e32 v[32:33], v[54:55], v[32:33]
	v_add_f64_e64 v[60:61], v[60:61], -v[122:123]
	v_mul_f64_e32 v[54:55], s[6:7], v[239:240]
	s_delay_alu instid0(VALU_DEP_3) | instskip(SKIP_1) | instid1(VALU_DEP_3)
	v_add_f64_e32 v[32:33], v[52:53], v[32:33]
	v_mul_f64_e32 v[52:53], s[22:23], v[128:129]
	v_add_f64_e64 v[54:55], v[54:55], -v[159:160]
	s_delay_alu instid0(VALU_DEP_3)
	v_add_f64_e32 v[30:31], v[30:31], v[32:33]
	v_add_f64_e32 v[32:33], v[62:63], v[34:35]
	v_mul_f64_e32 v[34:35], s[22:23], v[126:127]
	v_add_f64_e32 v[52:53], v[195:196], v[52:53]
	s_clause 0x1
	scratch_load_b64 v[62:63], off, off offset:308 th:TH_LOAD_LU
	scratch_load_b64 v[64:65], off, off offset:196 th:TH_LOAD_LU
	v_add_f64_e32 v[28:29], v[28:29], v[30:31]
	v_add_f64_e32 v[30:31], v[60:61], v[32:33]
	v_add_f64_e64 v[34:35], v[34:35], -v[191:192]
	v_mul_f64_e32 v[32:33], s[10:11], v[165:166]
	scratch_load_b64 v[60:61], off, off offset:420 th:TH_LOAD_LU ; 8-byte Folded Reload
	v_add_f64_e32 v[28:29], v[68:69], v[28:29]
	v_add_f64_e32 v[30:31], v[54:55], v[30:31]
	v_mul_f64_e32 v[54:55], s[10:11], v[163:164]
	v_add_f64_e32 v[32:33], v[225:226], v[32:33]
	v_mul_f64_e32 v[68:69], s[16:17], v[241:242]
	v_add_f64_e32 v[28:29], v[52:53], v[28:29]
	v_add_f64_e32 v[34:35], v[34:35], v[30:31]
	v_add_f64_e64 v[54:55], v[54:55], -v[223:224]
	scratch_load_b64 v[52:53], off, off offset:316 th:TH_LOAD_LU ; 8-byte Folded Reload
	v_add_f64_e32 v[68:69], v[152:153], v[68:69]
	v_add_f64_e32 v[30:31], v[32:33], v[28:29]
	v_mul_f64_e32 v[32:33], s[22:23], v[181:182]
	v_add_f64_e32 v[28:29], v[54:55], v[34:35]
	s_clause 0x1
	scratch_load_b64 v[34:35], off, off offset:428 th:TH_LOAD_LU
	scratch_load_b64 v[54:55], off, off offset:204 th:TH_LOAD_LU
	s_wait_loadcnt 0x1
	v_add_f64_e32 v[32:33], v[34:35], v[32:33]
	v_mul_f64_e32 v[34:35], s[18:19], v[148:149]
	s_delay_alu instid0(VALU_DEP_1) | instskip(SKIP_2) | instid1(VALU_DEP_1)
	v_add_f64_e32 v[34:35], v[52:53], v[34:35]
	v_mul_f64_e32 v[52:53], s[14:15], v[106:107]
	s_wait_loadcnt 0x0
	v_add_f64_e32 v[52:53], v[54:55], v[52:53]
	v_mul_f64_e32 v[54:55], s[22:23], v[177:178]
	s_delay_alu instid0(VALU_DEP_2) | instskip(NEXT) | instid1(VALU_DEP_2)
	v_add_f64_e32 v[44:45], v[52:53], v[44:45]
	v_add_f64_e64 v[54:55], v[54:55], -v[60:61]
	v_mul_f64_e32 v[60:61], s[18:19], v[144:145]
	v_mul_f64_e32 v[52:53], s[16:17], v[239:240]
	s_delay_alu instid0(VALU_DEP_4) | instskip(NEXT) | instid1(VALU_DEP_3)
	v_add_f64_e32 v[34:35], v[34:35], v[44:45]
	v_add_f64_e64 v[60:61], v[60:61], -v[62:63]
	v_mul_f64_e32 v[62:63], s[14:15], v[104:105]
	s_delay_alu instid0(VALU_DEP_4) | instskip(NEXT) | instid1(VALU_DEP_4)
	v_add_f64_e64 v[52:53], v[52:53], -v[150:151]
	v_add_f64_e32 v[32:33], v[32:33], v[34:35]
	s_delay_alu instid0(VALU_DEP_3) | instskip(SKIP_1) | instid1(VALU_DEP_2)
	v_add_f64_e64 v[62:63], v[62:63], -v[64:65]
	v_mul_f64_e32 v[64:65], s[20:21], v[211:212]
	v_add_f64_e32 v[46:47], v[62:63], v[46:47]
	s_delay_alu instid0(VALU_DEP_2) | instskip(SKIP_1) | instid1(VALU_DEP_3)
	v_add_f64_e32 v[64:65], v[116:117], v[64:65]
	v_mul_f64_e32 v[62:63], s[16:17], v[177:178]
	v_add_f64_e32 v[44:45], v[60:61], v[46:47]
	v_mul_f64_e32 v[46:47], s[10:11], v[128:129]
	s_delay_alu instid0(VALU_DEP_4)
	v_add_f64_e32 v[32:33], v[64:65], v[32:33]
	s_clause 0x1
	scratch_load_b64 v[60:61], off, off offset:188 th:TH_LOAD_LU
	scratch_load_b64 v[64:65], off, off offset:404 th:TH_LOAD_LU
	v_add_f64_e32 v[34:35], v[54:55], v[44:45]
	v_mul_f64_e32 v[44:45], s[10:11], v[126:127]
	v_add_f64_e32 v[46:47], v[189:190], v[46:47]
	v_mul_f64_e32 v[54:55], s[4:5], v[165:166]
	v_add_f64_e32 v[32:33], v[68:69], v[32:33]
	v_add_f64_e32 v[34:35], v[66:67], v[34:35]
	scratch_load_b64 v[66:67], off, off offset:292 th:TH_LOAD_LU ; 8-byte Folded Reload
	v_add_f64_e64 v[44:45], v[44:45], -v[187:188]
	v_add_f64_e32 v[54:55], v[205:206], v[54:55]
	v_add_f64_e32 v[32:33], v[46:47], v[32:33]
	scratch_load_b64 v[68:69], off, off offset:180 th:TH_LOAD_LU ; 8-byte Folded Reload
	v_mul_f64_e32 v[46:47], s[16:17], v[181:182]
	v_add_f64_e32 v[34:35], v[52:53], v[34:35]
	v_mul_f64_e32 v[52:53], s[4:5], v[163:164]
	s_delay_alu instid0(VALU_DEP_2) | instskip(NEXT) | instid1(VALU_DEP_2)
	v_add_f64_e32 v[44:45], v[44:45], v[34:35]
	v_add_f64_e64 v[52:53], v[52:53], -v[203:204]
	v_add_f64_e32 v[34:35], v[54:55], v[32:33]
	scratch_load_b64 v[54:55], off, off offset:300 th:TH_LOAD_LU ; 8-byte Folded Reload
	v_add_f64_e32 v[32:33], v[52:53], v[44:45]
	scratch_load_b64 v[52:53], off, off offset:412 th:TH_LOAD_LU ; 8-byte Folded Reload
	v_mul_f64_e32 v[44:45], s[6:7], v[211:212]
	s_delay_alu instid0(VALU_DEP_1) | instskip(SKIP_4) | instid1(VALU_DEP_1)
	v_add_f64_e32 v[44:45], v[112:113], v[44:45]
	s_wait_loadcnt 0x4
	v_add_f64_e64 v[62:63], v[62:63], -v[64:65]
	v_mul_f64_e32 v[64:65], s[22:23], v[144:145]
	s_wait_loadcnt 0x3
	v_add_f64_e64 v[64:65], v[64:65], -v[66:67]
	v_mul_f64_e32 v[66:67], s[18:19], v[104:105]
	s_wait_loadcnt 0x2
	s_delay_alu instid0(VALU_DEP_1) | instskip(SKIP_1) | instid1(VALU_DEP_2)
	v_add_f64_e64 v[66:67], v[66:67], -v[68:69]
	v_mul_f64_e32 v[68:69], s[4:5], v[241:242]
	v_add_f64_e32 v[38:39], v[66:67], v[38:39]
	s_delay_alu instid0(VALU_DEP_2)
	v_add_f64_e32 v[68:69], v[146:147], v[68:69]
	scratch_load_b64 v[66:67], off, off offset:276 th:TH_LOAD_LU ; 8-byte Folded Reload
	s_wait_loadcnt 0x1
	v_add_f64_e32 v[46:47], v[52:53], v[46:47]
	v_mul_f64_e32 v[52:53], s[22:23], v[148:149]
	v_add_f64_e32 v[38:39], v[64:65], v[38:39]
	scratch_load_b64 v[64:65], off, off offset:388 th:TH_LOAD_LU ; 8-byte Folded Reload
	v_add_f64_e32 v[52:53], v[54:55], v[52:53]
	v_mul_f64_e32 v[54:55], s[18:19], v[106:107]
	v_add_f64_e32 v[38:39], v[62:63], v[38:39]
	v_mul_f64_e32 v[62:63], s[4:5], v[177:178]
	s_delay_alu instid0(VALU_DEP_3) | instskip(SKIP_1) | instid1(VALU_DEP_2)
	v_add_f64_e32 v[54:55], v[60:61], v[54:55]
	v_mul_f64_e32 v[60:61], s[6:7], v[209:210]
	v_add_f64_e32 v[36:37], v[54:55], v[36:37]
	s_delay_alu instid0(VALU_DEP_2) | instskip(SKIP_1) | instid1(VALU_DEP_3)
	v_add_f64_e64 v[60:61], v[60:61], -v[253:254]
	v_mul_f64_e32 v[54:55], s[4:5], v[239:240]
	v_add_f64_e32 v[36:37], v[52:53], v[36:37]
	v_mul_f64_e32 v[52:53], s[14:15], v[128:129]
	s_delay_alu instid0(VALU_DEP_3)
	v_add_f64_e64 v[54:55], v[54:55], -v[142:143]
	v_add_f64_e32 v[38:39], v[60:61], v[38:39]
	scratch_load_b64 v[60:61], off, off offset:172 th:TH_LOAD_LU ; 8-byte Folded Reload
	v_add_f64_e32 v[36:37], v[46:47], v[36:37]
	v_mul_f64_e32 v[46:47], s[14:15], v[126:127]
	v_add_f64_e32 v[52:53], v[185:186], v[52:53]
	v_add_f64_e32 v[38:39], v[54:55], v[38:39]
	v_mul_f64_e32 v[54:55], s[20:21], v[163:164]
	v_add_f64_e32 v[36:37], v[44:45], v[36:37]
	v_add_f64_e64 v[46:47], v[46:47], -v[183:184]
	v_mul_f64_e32 v[44:45], s[20:21], v[165:166]
	s_delay_alu instid0(VALU_DEP_4) | instskip(NEXT) | instid1(VALU_DEP_4)
	v_add_f64_e64 v[54:55], v[54:55], -v[207:208]
	v_add_f64_e32 v[36:37], v[68:69], v[36:37]
	s_delay_alu instid0(VALU_DEP_4) | instskip(NEXT) | instid1(VALU_DEP_4)
	v_add_f64_e32 v[46:47], v[46:47], v[38:39]
	v_add_f64_e32 v[44:45], v[213:214], v[44:45]
	scratch_load_b64 v[68:69], off, off offset:164 th:TH_LOAD_LU ; 8-byte Folded Reload
	v_add_f64_e32 v[36:37], v[52:53], v[36:37]
	scratch_load_b64 v[52:53], off, off offset:396 th:TH_LOAD_LU ; 8-byte Folded Reload
	s_wait_loadcnt 0x3
	v_add_f64_e64 v[62:63], v[62:63], -v[64:65]
	v_mul_f64_e32 v[64:65], s[16:17], v[144:145]
	v_add_f64_e32 v[38:39], v[44:45], v[36:37]
	v_add_f64_e32 v[36:37], v[54:55], v[46:47]
	scratch_load_b64 v[54:55], off, off offset:284 th:TH_LOAD_LU ; 8-byte Folded Reload
	v_mul_f64_e32 v[46:47], s[4:5], v[181:182]
	v_mul_f64_e32 v[44:45], s[10:11], v[211:212]
	v_add_f64_e64 v[64:65], v[64:65], -v[66:67]
	v_mul_f64_e32 v[66:67], s[22:23], v[104:105]
	s_delay_alu instid0(VALU_DEP_3) | instskip(SKIP_1) | instid1(VALU_DEP_2)
	v_add_f64_e32 v[44:45], v[235:236], v[44:45]
	s_wait_loadcnt 0x2
	v_add_f64_e64 v[66:67], v[66:67], -v[68:69]
	v_mul_f64_e32 v[68:69], s[20:21], v[241:242]
	s_wait_loadcnt 0x1
	v_add_f64_e32 v[46:47], v[52:53], v[46:47]
	v_mul_f64_e32 v[52:53], s[16:17], v[148:149]
	s_delay_alu instid0(VALU_DEP_4) | instskip(NEXT) | instid1(VALU_DEP_4)
	v_add_f64_e32 v[42:43], v[66:67], v[42:43]
	v_add_f64_e32 v[68:69], v[140:141], v[68:69]
	scratch_load_b64 v[66:67], off, off offset:260 th:TH_LOAD_LU ; 8-byte Folded Reload
	s_wait_loadcnt 0x1
	v_add_f64_e32 v[52:53], v[54:55], v[52:53]
	v_mul_f64_e32 v[54:55], s[22:23], v[106:107]
	v_add_f64_e32 v[42:43], v[64:65], v[42:43]
	scratch_load_b64 v[64:65], off, off offset:372 th:TH_LOAD_LU ; 8-byte Folded Reload
	v_add_f64_e32 v[54:55], v[60:61], v[54:55]
	v_mul_f64_e32 v[60:61], s[10:11], v[209:210]
	v_add_f64_e32 v[42:43], v[62:63], v[42:43]
	v_mul_f64_e32 v[62:63], s[10:11], v[177:178]
	s_delay_alu instid0(VALU_DEP_4) | instskip(NEXT) | instid1(VALU_DEP_4)
	v_add_f64_e32 v[40:41], v[54:55], v[40:41]
	v_add_f64_e64 v[60:61], v[60:61], -v[249:250]
	v_mul_f64_e32 v[54:55], s[20:21], v[239:240]
	s_delay_alu instid0(VALU_DEP_3) | instskip(SKIP_1) | instid1(VALU_DEP_3)
	v_add_f64_e32 v[40:41], v[52:53], v[40:41]
	v_mul_f64_e32 v[52:53], s[18:19], v[128:129]
	v_add_f64_e64 v[54:55], v[54:55], -v[138:139]
	v_add_f64_e32 v[42:43], v[60:61], v[42:43]
	scratch_load_b64 v[60:61], off, off offset:156 th:TH_LOAD_LU ; 8-byte Folded Reload
	v_add_f64_e32 v[40:41], v[46:47], v[40:41]
	v_mul_f64_e32 v[46:47], s[18:19], v[126:127]
	v_add_f64_e32 v[52:53], v[179:180], v[52:53]
	v_add_f64_e32 v[42:43], v[54:55], v[42:43]
	v_mul_f64_e32 v[54:55], s[6:7], v[163:164]
	v_add_f64_e32 v[40:41], v[44:45], v[40:41]
	v_add_f64_e64 v[46:47], v[46:47], -v[175:176]
	v_mul_f64_e32 v[44:45], s[6:7], v[165:166]
	s_delay_alu instid0(VALU_DEP_4) | instskip(NEXT) | instid1(VALU_DEP_4)
	v_add_f64_e64 v[54:55], v[54:55], -v[215:216]
	v_add_f64_e32 v[40:41], v[68:69], v[40:41]
	s_delay_alu instid0(VALU_DEP_4) | instskip(NEXT) | instid1(VALU_DEP_4)
	v_add_f64_e32 v[46:47], v[46:47], v[42:43]
	v_add_f64_e32 v[44:45], v[217:218], v[44:45]
	scratch_load_b64 v[68:69], off, off offset:148 th:TH_LOAD_LU ; 8-byte Folded Reload
	v_add_f64_e32 v[40:41], v[52:53], v[40:41]
	scratch_load_b64 v[52:53], off, off offset:380 th:TH_LOAD_LU ; 8-byte Folded Reload
	v_add_f64_e32 v[42:43], v[44:45], v[40:41]
	v_add_f64_e32 v[40:41], v[54:55], v[46:47]
	scratch_load_b64 v[54:55], off, off offset:268 th:TH_LOAD_LU ; 8-byte Folded Reload
	v_mul_f64_e32 v[46:47], s[10:11], v[181:182]
	v_mul_f64_e32 v[44:45], s[22:23], v[211:212]
	s_wait_loadcnt 0x4
	v_add_f64_e64 v[62:63], v[62:63], -v[64:65]
	v_mul_f64_e32 v[64:65], s[6:7], v[144:145]
	s_delay_alu instid0(VALU_DEP_3) | instskip(NEXT) | instid1(VALU_DEP_2)
	v_add_f64_e32 v[44:45], v[247:248], v[44:45]
	v_add_f64_e64 v[64:65], v[64:65], -v[66:67]
	v_mul_f64_e32 v[66:67], s[20:21], v[104:105]
	s_wait_loadcnt 0x2
	s_delay_alu instid0(VALU_DEP_1) | instskip(SKIP_4) | instid1(VALU_DEP_3)
	v_add_f64_e64 v[66:67], v[66:67], -v[68:69]
	v_mul_f64_e32 v[68:69], s[14:15], v[241:242]
	s_wait_loadcnt 0x1
	v_add_f64_e32 v[46:47], v[52:53], v[46:47]
	v_mul_f64_e32 v[52:53], s[6:7], v[148:149]
	v_add_f64_e32 v[68:69], v[136:137], v[68:69]
	s_wait_loadcnt 0x0
	s_delay_alu instid0(VALU_DEP_2) | instskip(SKIP_1) | instid1(VALU_DEP_1)
	v_add_f64_e32 v[52:53], v[54:55], v[52:53]
	v_mul_f64_e32 v[54:55], s[20:21], v[106:107]
	v_add_f64_e32 v[54:55], v[60:61], v[54:55]
	v_mul_f64_e32 v[60:61], s[22:23], v[209:210]
	s_delay_alu instid0(VALU_DEP_2) | instskip(SKIP_1) | instid1(VALU_DEP_3)
	v_add_f64_e32 v[54:55], v[54:55], v[56:57]
	v_add_f64_e32 v[56:57], v[66:67], v[58:59]
	v_add_f64_e64 v[60:61], v[60:61], -v[245:246]
	v_mul_f64_e32 v[58:59], s[14:15], v[239:240]
	scratch_load_b64 v[66:67], off, off offset:444 th:TH_LOAD_LU ; 8-byte Folded Reload
	v_add_f64_e32 v[52:53], v[52:53], v[54:55]
	v_add_f64_e32 v[54:55], v[64:65], v[56:57]
	v_mul_f64_e32 v[56:57], s[4:5], v[128:129]
	v_add_f64_e64 v[58:59], v[58:59], -v[134:135]
	s_delay_alu instid0(VALU_DEP_4) | instskip(NEXT) | instid1(VALU_DEP_4)
	v_add_f64_e32 v[46:47], v[46:47], v[52:53]
	v_add_f64_e32 v[52:53], v[62:63], v[54:55]
	v_mul_f64_e32 v[54:55], s[4:5], v[126:127]
	v_add_f64_e32 v[56:57], v[171:172], v[56:57]
	scratch_load_b64 v[62:63], off, off offset:228 th:TH_LOAD_LU ; 8-byte Folded Reload
	v_add_f64_e32 v[44:45], v[44:45], v[46:47]
	v_add_f64_e32 v[46:47], v[60:61], v[52:53]
	v_add_f64_e64 v[54:55], v[54:55], -v[167:168]
	v_mul_f64_e32 v[52:53], s[18:19], v[165:166]
	scratch_load_b64 v[60:61], off, off offset:116 th:TH_LOAD_LU ; 8-byte Folded Reload
	v_add_f64_e32 v[44:45], v[68:69], v[44:45]
	scratch_load_b64 v[68:69], off, off offset:436 th:TH_LOAD_LU ; 8-byte Folded Reload
	v_add_f64_e32 v[46:47], v[58:59], v[46:47]
	v_mul_f64_e32 v[58:59], s[18:19], v[163:164]
	v_add_f64_e32 v[52:53], v[221:222], v[52:53]
	scratch_load_b64 v[64:65], off, off offset:324 th:TH_LOAD_LU ; 8-byte Folded Reload
	v_add_f64_e32 v[44:45], v[56:57], v[44:45]
	scratch_load_b64 v[56:57], off, off offset:236 th:TH_LOAD_LU ; 8-byte Folded Reload
	v_add_f64_e32 v[54:55], v[54:55], v[46:47]
	v_add_f64_e64 v[58:59], v[58:59], -v[219:220]
	v_add_f64_e32 v[46:47], v[52:53], v[44:45]
	v_mul_f64_e32 v[52:53], s[14:15], v[181:182]
	s_delay_alu instid0(VALU_DEP_3)
	v_add_f64_e32 v[44:45], v[58:59], v[54:55]
	s_clause 0x1
	scratch_load_b64 v[54:55], off, off offset:348 th:TH_LOAD_LU
	scratch_load_b64 v[58:59], off, off offset:124 th:TH_LOAD_LU
	s_wait_loadcnt 0x1
	v_add_f64_e32 v[52:53], v[54:55], v[52:53]
	v_mul_f64_e32 v[54:55], s[10:11], v[148:149]
	s_delay_alu instid0(VALU_DEP_1) | instskip(SKIP_2) | instid1(VALU_DEP_1)
	v_add_f64_e32 v[54:55], v[56:57], v[54:55]
	v_mul_f64_e32 v[56:57], s[6:7], v[106:107]
	s_wait_loadcnt 0x0
	v_add_f64_e32 v[56:57], v[58:59], v[56:57]
	v_mul_f64_e32 v[58:59], s[6:7], v[104:105]
	s_delay_alu instid0(VALU_DEP_2) | instskip(NEXT) | instid1(VALU_DEP_2)
	v_add_f64_e32 v[48:49], v[56:57], v[48:49]
	v_add_f64_e64 v[58:59], v[58:59], -v[60:61]
	v_mul_f64_e32 v[60:61], s[10:11], v[144:145]
	v_mul_f64_e32 v[56:57], s[18:19], v[239:240]
	s_delay_alu instid0(VALU_DEP_4) | instskip(NEXT) | instid1(VALU_DEP_4)
	v_add_f64_e32 v[48:49], v[54:55], v[48:49]
	v_add_f64_e32 v[50:51], v[58:59], v[50:51]
	s_delay_alu instid0(VALU_DEP_4)
	v_add_f64_e64 v[60:61], v[60:61], -v[62:63]
	v_mul_f64_e32 v[62:63], s[14:15], v[177:178]
	v_add_f64_e64 v[56:57], v[56:57], -v[118:119]
	v_mul_f64_e32 v[54:55], s[20:21], v[128:129]
	v_mul_f64_e32 v[58:59], s[22:23], v[165:166]
	v_add_f64_e32 v[48:49], v[52:53], v[48:49]
	v_mul_f64_e32 v[52:53], s[20:21], v[126:127]
	v_add_f64_e32 v[50:51], v[60:61], v[50:51]
	v_add_f64_e64 v[62:63], v[62:63], -v[64:65]
	v_mul_f64_e32 v[64:65], s[16:17], v[211:212]
	v_add_f64_e32 v[54:55], v[157:158], v[54:55]
	v_add_f64_e32 v[58:59], v[197:198], v[58:59]
	v_add_f64_e64 v[52:53], v[52:53], -v[154:155]
	v_add_f64_e32 v[50:51], v[62:63], v[50:51]
	v_add_f64_e32 v[64:65], v[66:67], v[64:65]
	v_mul_f64_e32 v[66:67], s[16:17], v[209:210]
	s_delay_alu instid0(VALU_DEP_2) | instskip(NEXT) | instid1(VALU_DEP_2)
	v_add_f64_e32 v[48:49], v[64:65], v[48:49]
	v_add_f64_e64 v[66:67], v[66:67], -v[68:69]
	v_mul_f64_e32 v[68:69], s[18:19], v[241:242]
	s_delay_alu instid0(VALU_DEP_2) | instskip(NEXT) | instid1(VALU_DEP_2)
	v_add_f64_e32 v[50:51], v[66:67], v[50:51]
	v_add_f64_e32 v[68:69], v[120:121], v[68:69]
	s_delay_alu instid0(VALU_DEP_2) | instskip(NEXT) | instid1(VALU_DEP_2)
	v_add_f64_e32 v[50:51], v[56:57], v[50:51]
	v_add_f64_e32 v[48:49], v[68:69], v[48:49]
	v_mul_f64_e32 v[56:57], s[22:23], v[163:164]
	s_delay_alu instid0(VALU_DEP_3) | instskip(NEXT) | instid1(VALU_DEP_3)
	v_add_f64_e32 v[52:53], v[52:53], v[50:51]
	v_add_f64_e32 v[48:49], v[54:55], v[48:49]
	s_delay_alu instid0(VALU_DEP_3) | instskip(NEXT) | instid1(VALU_DEP_2)
	v_add_f64_e64 v[56:57], v[56:57], -v[193:194]
	v_add_f64_e32 v[50:51], v[58:59], v[48:49]
	s_delay_alu instid0(VALU_DEP_2) | instskip(SKIP_1) | instid1(VALU_DEP_1)
	v_add_f64_e32 v[48:49], v[56:57], v[52:53]
	v_mul_lo_u16 v52, v227, 17
	v_and_b32_e32 v52, 0xffff, v52
	s_delay_alu instid0(VALU_DEP_1)
	v_add_lshl_u32 v52, v237, v52, 4
	ds_store_b128 v52, v[32:35] offset:32
	ds_store_b128 v52, v[36:39] offset:48
	;; [unrolled: 1-line block ×15, first 2 shown]
	ds_store_b128 v52, v[24:27]
	ds_store_b128 v52, v[0:3] offset:256
.LBB0_7:
	s_wait_alu 0xfffe
	s_or_b32 exec_lo, exec_lo, s24
	v_add_lshl_u32 v252, v237, v227, 4
	global_wb scope:SCOPE_SE
	s_wait_storecnt_dscnt 0x0
	s_barrier_signal -1
	s_barrier_wait -1
	global_inv scope:SCOPE_SE
	ds_load_b128 v[32:35], v252
	ds_load_b128 v[56:59], v252 offset:1088
	ds_load_b128 v[76:79], v252 offset:2720
	;; [unrolled: 1-line block ×7, first 2 shown]
	s_load_b64 s[10:11], s[0:1], 0x8
	v_cmp_gt_u16_e64 s0, 34, v227
	s_delay_alu instid0(VALU_DEP_1)
	s_and_saveexec_b32 s1, s0
	s_cbranch_execz .LBB0_9
; %bb.8:
	ds_load_b128 v[96:99], v252 offset:2176
	ds_load_b128 v[100:103], v252 offset:4896
	;; [unrolled: 1-line block ×4, first 2 shown]
.LBB0_9:
	s_wait_alu 0xfffe
	s_or_b32 exec_lo, exec_lo, s1
	v_and_b32_e32 v20, 0xff, v227
	v_add_nc_u16 v21, v227, 0x44
	v_add_nc_u16 v24, v227, 0x88
	s_delay_alu instid0(VALU_DEP_3) | instskip(NEXT) | instid1(VALU_DEP_3)
	v_mul_lo_u16 v20, 0xf1, v20
	v_and_b32_e32 v22, 0xff, v21
	s_delay_alu instid0(VALU_DEP_3) | instskip(NEXT) | instid1(VALU_DEP_3)
	v_and_b32_e32 v25, 0xff, v24
	v_lshrrev_b16 v132, 12, v20
	s_delay_alu instid0(VALU_DEP_3) | instskip(NEXT) | instid1(VALU_DEP_3)
	v_mul_lo_u16 v20, 0xf1, v22
	v_mul_lo_u16 v25, 0xf1, v25
	s_delay_alu instid0(VALU_DEP_3) | instskip(NEXT) | instid1(VALU_DEP_3)
	v_mul_lo_u16 v22, v132, 17
	v_lshrrev_b16 v133, 12, v20
	s_delay_alu instid0(VALU_DEP_3) | instskip(NEXT) | instid1(VALU_DEP_3)
	v_lshrrev_b16 v136, 12, v25
	v_sub_nc_u16 v20, v227, v22
	s_delay_alu instid0(VALU_DEP_3) | instskip(NEXT) | instid1(VALU_DEP_2)
	v_mul_lo_u16 v22, v133, 17
	v_and_b32_e32 v134, 0xff, v20
	s_delay_alu instid0(VALU_DEP_2) | instskip(SKIP_1) | instid1(VALU_DEP_2)
	v_sub_nc_u16 v22, v21, v22
	s_wait_kmcnt 0x0
	v_mad_co_u64_u32 v[20:21], null, v134, 48, s[10:11]
	s_delay_alu instid0(VALU_DEP_2)
	v_and_b32_e32 v135, 0xff, v22
	s_clause 0x1
	global_load_b128 v[64:67], v[20:21], off
	global_load_b128 v[52:55], v[20:21], off offset:16
	v_mad_co_u64_u32 v[22:23], null, v135, 48, s[10:11]
	s_clause 0x3
	global_load_b128 v[48:51], v[20:21], off offset:32
	global_load_b128 v[44:47], v[22:23], off
	global_load_b128 v[40:43], v[22:23], off offset:16
	global_load_b128 v[36:39], v[22:23], off offset:32
	v_mul_lo_u16 v20, v136, 17
	s_delay_alu instid0(VALU_DEP_1) | instskip(NEXT) | instid1(VALU_DEP_1)
	v_sub_nc_u16 v20, v24, v20
	v_and_b32_e32 v20, 0xff, v20
	scratch_store_b32 off, v20, off offset:8 ; 4-byte Folded Spill
	v_mad_co_u64_u32 v[20:21], null, v20, 48, s[10:11]
	s_clause 0x2
	global_load_b128 v[28:31], v[20:21], off
	global_load_b128 v[24:27], v[20:21], off offset:16
	global_load_b128 v[20:23], v[20:21], off offset:32
	s_load_b128 s[4:7], s[2:3], 0x0
	s_wait_loadcnt_dscnt 0x805
	v_mul_f64_e32 v[104:105], v[78:79], v[66:67]
	v_mul_f64_e32 v[106:107], v[76:77], v[66:67]
	s_wait_loadcnt_dscnt 0x703
	v_mul_f64_e32 v[108:109], v[82:83], v[54:55]
	v_mul_f64_e32 v[110:111], v[80:81], v[54:55]
	;; [unrolled: 3-line block ×3, first 2 shown]
	s_wait_loadcnt 0x5
	v_mul_f64_e32 v[116:117], v[62:63], v[46:47]
	v_mul_f64_e32 v[118:119], v[60:61], v[46:47]
	s_wait_loadcnt 0x4
	v_mul_f64_e32 v[120:121], v[70:71], v[42:43]
	v_mul_f64_e32 v[122:123], v[68:69], v[42:43]
	s_wait_loadcnt_dscnt 0x300
	v_mul_f64_e32 v[124:125], v[74:75], v[38:39]
	v_mul_f64_e32 v[126:127], v[72:73], v[38:39]
	s_wait_loadcnt 0x2
	v_mul_f64_e32 v[128:129], v[102:103], v[30:31]
	v_mul_f64_e32 v[130:131], v[100:101], v[30:31]
	v_fma_f64 v[76:77], v[76:77], v[64:65], -v[104:105]
	v_fma_f64 v[78:79], v[78:79], v[64:65], v[106:107]
	v_fma_f64 v[80:81], v[80:81], v[52:53], -v[108:109]
	v_fma_f64 v[82:83], v[82:83], v[52:53], v[110:111]
	s_wait_loadcnt 0x1
	v_mul_f64_e32 v[104:105], v[94:95], v[26:27]
	v_mul_f64_e32 v[106:107], v[92:93], v[26:27]
	s_wait_loadcnt 0x0
	v_mul_f64_e32 v[108:109], v[90:91], v[22:23]
	v_mul_f64_e32 v[110:111], v[88:89], v[22:23]
	v_fma_f64 v[84:85], v[84:85], v[48:49], -v[112:113]
	v_fma_f64 v[86:87], v[86:87], v[48:49], v[114:115]
	v_fma_f64 v[60:61], v[60:61], v[44:45], -v[116:117]
	v_fma_f64 v[62:63], v[62:63], v[44:45], v[118:119]
	;; [unrolled: 2-line block ×5, first 2 shown]
	v_add_f64_e64 v[80:81], v[32:33], -v[80:81]
	v_add_f64_e64 v[82:83], v[34:35], -v[82:83]
	v_fma_f64 v[88:89], v[88:89], v[20:21], -v[108:109]
	v_fma_f64 v[90:91], v[90:91], v[20:21], v[110:111]
	v_add_f64_e64 v[84:85], v[76:77], -v[84:85]
	v_add_f64_e64 v[86:87], v[78:79], -v[86:87]
	;; [unrolled: 1-line block ×6, first 2 shown]
	v_fma_f64 v[72:73], v[92:93], v[24:25], -v[104:105]
	v_fma_f64 v[74:75], v[94:95], v[24:25], v[106:107]
	v_fma_f64 v[94:95], v[32:33], 2.0, -v[80:81]
	v_fma_f64 v[104:105], v[34:35], 2.0, -v[82:83]
	v_add_f64_e64 v[110:111], v[100:101], -v[88:89]
	v_add_f64_e64 v[88:89], v[102:103], -v[90:91]
	v_fma_f64 v[34:35], v[76:77], 2.0, -v[84:85]
	v_fma_f64 v[76:77], v[78:79], 2.0, -v[86:87]
	;; [unrolled: 1-line block ×6, first 2 shown]
	v_add_f64_e64 v[32:33], v[96:97], -v[72:73]
	v_add_f64_e64 v[56:57], v[98:99], -v[74:75]
	;; [unrolled: 1-line block ×3, first 2 shown]
	v_add_f64_e32 v[62:63], v[82:83], v[84:85]
	v_add_f64_e64 v[68:69], v[112:113], -v[68:69]
	v_add_f64_e32 v[70:71], v[114:115], v[70:71]
	v_add_f64_e64 v[72:73], v[94:95], -v[34:35]
	v_add_f64_e64 v[74:75], v[104:105], -v[76:77]
	;; [unrolled: 1-line block ×4, first 2 shown]
	v_fma_f64 v[34:35], v[96:97], 2.0, -v[32:33]
	v_fma_f64 v[58:59], v[98:99], 2.0, -v[56:57]
	;; [unrolled: 1-line block ×4, first 2 shown]
	v_add_f64_e64 v[92:93], v[32:33], -v[88:89]
	v_fma_f64 v[80:81], v[80:81], 2.0, -v[60:61]
	v_fma_f64 v[82:83], v[82:83], 2.0, -v[62:63]
	;; [unrolled: 1-line block ×5, first 2 shown]
	v_add_f64_e32 v[94:95], v[56:57], v[110:111]
	v_fma_f64 v[90:91], v[104:105], 2.0, -v[74:75]
	v_and_b32_e32 v104, 0xffff, v132
	v_and_b32_e32 v105, 0xffff, v133
	v_fma_f64 v[100:101], v[106:107], 2.0, -v[76:77]
	v_fma_f64 v[102:103], v[108:109], 2.0, -v[78:79]
	s_delay_alu instid0(VALU_DEP_4) | instskip(NEXT) | instid1(VALU_DEP_4)
	v_mul_u32_u24_e32 v104, 0x44, v104
	v_mul_u32_u24_e32 v105, 0x44, v105
	v_add_f64_e64 v[96:97], v[34:35], -v[96:97]
	v_add_f64_e64 v[98:99], v[58:59], -v[98:99]
	v_and_b32_e32 v106, 0xffff, v136
	v_add_nc_u32_e32 v104, v104, v134
	v_add_nc_u32_e32 v105, v105, v135
	scratch_store_b32 off, v106, off offset:16 ; 4-byte Folded Spill
	v_add_lshl_u32 v254, v237, v104, 4
	v_add_lshl_u32 v253, v237, v105, 4
	global_wb scope:SCOPE_SE
	s_wait_storecnt 0x0
	s_wait_kmcnt 0x0
	s_barrier_signal -1
	s_barrier_wait -1
	global_inv scope:SCOPE_SE
	ds_store_b128 v254, v[72:75] offset:544
	ds_store_b128 v254, v[60:63] offset:816
	ds_store_b128 v254, v[88:91]
	ds_store_b128 v254, v[80:83] offset:272
	ds_store_b128 v253, v[100:103]
	ds_store_b128 v253, v[84:87] offset:272
	ds_store_b128 v253, v[76:79] offset:544
	;; [unrolled: 1-line block ×3, first 2 shown]
	s_and_saveexec_b32 s1, s0
	s_cbranch_execz .LBB0_11
; %bb.10:
	v_fma_f64 v[70:71], v[58:59], 2.0, -v[98:99]
	v_fma_f64 v[58:59], v[32:33], 2.0, -v[92:93]
	s_clause 0x1
	scratch_load_b32 v32, off, off offset:16
	scratch_load_b32 v33, off, off offset:8
	v_fma_f64 v[68:69], v[34:35], 2.0, -v[96:97]
	v_fma_f64 v[60:61], v[56:57], 2.0, -v[94:95]
	s_wait_loadcnt 0x1
	v_mul_u32_u24_e32 v32, 0x44, v32
	s_wait_loadcnt 0x0
	s_delay_alu instid0(VALU_DEP_1) | instskip(NEXT) | instid1(VALU_DEP_1)
	v_add_nc_u32_e32 v32, v32, v33
	v_add_lshl_u32 v32, v237, v32, 4
	ds_store_b128 v32, v[68:71]
	ds_store_b128 v32, v[58:61] offset:272
	ds_store_b128 v32, v[96:99] offset:544
	;; [unrolled: 1-line block ×3, first 2 shown]
.LBB0_11:
	s_wait_alu 0xfffe
	s_or_b32 exec_lo, exec_lo, s1
	v_mad_co_u64_u32 v[56:57], null, 0x90, v227, s[10:11]
	global_wb scope:SCOPE_SE
	s_wait_dscnt 0x0
	s_barrier_signal -1
	s_barrier_wait -1
	global_inv scope:SCOPE_SE
	s_mov_b32 s10, 0x134454ff
	s_mov_b32 s11, 0x3fee6f0e
	s_clause 0x8
	global_load_b128 v[76:79], v[56:57], off offset:848
	global_load_b128 v[84:87], v[56:57], off offset:880
	global_load_b128 v[80:83], v[56:57], off offset:912
	global_load_b128 v[88:91], v[56:57], off offset:944
	global_load_b128 v[32:35], v[56:57], off offset:816
	global_load_b128 v[72:75], v[56:57], off offset:832
	global_load_b128 v[68:71], v[56:57], off offset:864
	global_load_b128 v[60:63], v[56:57], off offset:896
	global_load_b128 v[56:59], v[56:57], off offset:928
	ds_load_b128 v[100:103], v252 offset:3264
	ds_load_b128 v[104:107], v252 offset:5440
	;; [unrolled: 1-line block ×6, first 2 shown]
	s_mov_b32 s3, 0xbfee6f0e
	s_wait_alu 0xfffe
	s_mov_b32 s2, s10
	s_mov_b32 s16, 0x4755a5e
	;; [unrolled: 1-line block ×4, first 2 shown]
	s_wait_alu 0xfffe
	s_mov_b32 s14, s16
	s_mov_b32 s18, 0x372fe950
	s_mov_b32 s19, 0x3fd3c6ef
	s_mov_b32 s20, 0x9b97f4a8
	s_mov_b32 s21, 0x3fe9e377
	s_wait_loadcnt_dscnt 0x805
	v_mul_f64_e32 v[124:125], v[102:103], v[78:79]
	s_wait_loadcnt_dscnt 0x704
	v_mul_f64_e32 v[128:129], v[106:107], v[86:87]
	;; [unrolled: 2-line block ×4, first 2 shown]
	v_mul_f64_e32 v[126:127], v[100:101], v[78:79]
	v_mul_f64_e32 v[130:131], v[104:105], v[86:87]
	v_mul_f64_e32 v[132:133], v[108:109], v[82:83]
	v_mul_f64_e32 v[136:137], v[114:115], v[90:91]
	s_wait_loadcnt_dscnt 0x401
	v_mul_f64_e32 v[140:141], v[118:119], v[34:35]
	v_mul_f64_e32 v[142:143], v[116:117], v[34:35]
	v_fma_f64 v[124:125], v[100:101], v[76:77], -v[124:125]
	v_fma_f64 v[128:129], v[104:105], v[84:85], -v[128:129]
	v_fma_f64 v[114:115], v[114:115], v[88:89], v[134:135]
	v_fma_f64 v[134:135], v[108:109], v[80:81], -v[138:139]
	v_fma_f64 v[126:127], v[102:103], v[76:77], v[126:127]
	v_fma_f64 v[130:131], v[106:107], v[84:85], v[130:131]
	;; [unrolled: 1-line block ×3, first 2 shown]
	ds_load_b128 v[100:103], v252 offset:4352
	ds_load_b128 v[104:107], v252 offset:6528
	;; [unrolled: 1-line block ×3, first 2 shown]
	v_fma_f64 v[112:113], v[112:113], v[88:89], -v[136:137]
	s_wait_loadcnt_dscnt 0x303
	v_mul_f64_e32 v[136:137], v[122:123], v[74:75]
	v_fma_f64 v[116:117], v[116:117], v[32:33], -v[140:141]
	v_mul_f64_e32 v[138:139], v[120:121], v[74:75]
	v_fma_f64 v[118:119], v[118:119], v[32:33], v[142:143]
	s_wait_loadcnt_dscnt 0x202
	v_mul_f64_e32 v[144:145], v[102:103], v[70:71]
	s_wait_loadcnt_dscnt 0x101
	v_mul_f64_e32 v[148:149], v[106:107], v[62:63]
	;; [unrolled: 2-line block ×3, first 2 shown]
	v_mul_f64_e32 v[154:155], v[108:109], v[58:59]
	v_mul_f64_e32 v[146:147], v[100:101], v[70:71]
	;; [unrolled: 1-line block ×3, first 2 shown]
	v_add_f64_e64 v[165:166], v[124:125], -v[128:129]
	v_add_f64_e64 v[169:170], v[128:129], -v[124:125]
	v_add_f64_e32 v[159:160], v[128:129], v[134:135]
	v_add_f64_e32 v[142:143], v[126:127], v[114:115]
	v_add_f64_e64 v[173:174], v[126:127], -v[130:131]
	v_add_f64_e32 v[140:141], v[130:131], v[132:133]
	v_add_f64_e64 v[175:176], v[114:115], -v[132:133]
	v_add_f64_e32 v[157:158], v[124:125], v[112:113]
	v_fma_f64 v[120:121], v[120:121], v[72:73], -v[136:137]
	v_add_f64_e64 v[167:168], v[112:113], -v[134:135]
	v_fma_f64 v[122:123], v[122:123], v[72:73], v[138:139]
	v_add_f64_e64 v[171:172], v[134:135], -v[112:113]
	v_add_f64_e64 v[177:178], v[130:131], -v[126:127]
	;; [unrolled: 1-line block ×3, first 2 shown]
	v_fma_f64 v[136:137], v[100:101], v[68:69], -v[144:145]
	v_fma_f64 v[104:105], v[104:105], v[60:61], -v[148:149]
	;; [unrolled: 1-line block ×3, first 2 shown]
	v_fma_f64 v[110:111], v[110:111], v[56:57], v[154:155]
	v_add_f64_e64 v[144:145], v[126:127], -v[114:115]
	v_fma_f64 v[138:139], v[102:103], v[68:69], v[146:147]
	v_fma_f64 v[106:107], v[106:107], v[60:61], v[152:153]
	v_add_f64_e64 v[146:147], v[130:131], -v[132:133]
	v_add_f64_e64 v[148:149], v[124:125], -v[112:113]
	;; [unrolled: 1-line block ×3, first 2 shown]
	ds_load_b128 v[100:103], v252
	v_fma_f64 v[154:155], v[159:160], -0.5, v[116:117]
	v_fma_f64 v[142:143], v[142:143], -0.5, v[118:119]
	;; [unrolled: 1-line block ×3, first 2 shown]
	v_add_f64_e32 v[118:119], v[118:119], v[126:127]
	v_fma_f64 v[152:153], v[157:158], -0.5, v[116:117]
	v_add_f64_e32 v[116:117], v[116:117], v[124:125]
	s_wait_dscnt 0x0
	v_add_f64_e32 v[189:190], v[100:101], v[120:121]
	v_add_f64_e32 v[195:196], v[102:103], v[122:123]
	;; [unrolled: 1-line block ×4, first 2 shown]
	v_add_f64_e64 v[191:192], v[122:123], -v[110:111]
	v_add_f64_e32 v[163:164], v[122:123], v[110:111]
	v_add_f64_e64 v[197:198], v[120:121], -v[108:109]
	v_add_f64_e32 v[161:162], v[138:139], v[106:107]
	v_add_f64_e64 v[193:194], v[138:139], -v[106:107]
	v_add_f64_e64 v[199:200], v[136:137], -v[104:105]
	v_fma_f64 v[187:188], v[144:145], s[2:3], v[154:155]
	v_fma_f64 v[183:184], v[150:151], s[10:11], v[142:143]
	;; [unrolled: 1-line block ×8, first 2 shown]
	v_add_f64_e32 v[116:117], v[116:117], v[128:129]
	v_add_f64_e32 v[118:119], v[118:119], v[130:131]
	v_fma_f64 v[124:125], v[157:158], -0.5, v[100:101]
	v_fma_f64 v[100:101], v[159:160], -0.5, v[100:101]
	v_add_f64_e32 v[157:158], v[165:166], v[167:168]
	v_add_f64_e32 v[159:160], v[169:170], v[171:172]
	v_fma_f64 v[126:127], v[161:162], -0.5, v[102:103]
	v_add_f64_e32 v[161:162], v[173:174], v[175:176]
	v_add_f64_e64 v[173:174], v[110:111], -v[106:107]
	v_fma_f64 v[102:103], v[163:164], -0.5, v[102:103]
	v_add_f64_e32 v[163:164], v[177:178], v[179:180]
	v_add_f64_e64 v[175:176], v[106:107], -v[110:111]
	s_wait_alu 0xfffe
	v_fma_f64 v[171:172], v[146:147], s[14:15], v[187:188]
	v_fma_f64 v[167:168], v[148:149], s[14:15], v[183:184]
	v_fma_f64 v[146:147], v[146:147], s[16:17], v[154:155]
	v_fma_f64 v[165:166], v[150:151], s[14:15], v[181:182]
	v_fma_f64 v[142:143], v[148:149], s[16:17], v[142:143]
	v_fma_f64 v[140:141], v[150:151], s[16:17], v[140:141]
	v_add_f64_e64 v[148:149], v[120:121], -v[136:137]
	v_add_f64_e64 v[150:151], v[108:109], -v[104:105]
	;; [unrolled: 1-line block ×3, first 2 shown]
	v_fma_f64 v[169:170], v[144:145], s[14:15], v[185:186]
	v_fma_f64 v[144:145], v[144:145], s[16:17], v[152:153]
	v_add_f64_e64 v[120:121], v[136:137], -v[120:121]
	v_add_f64_e64 v[152:153], v[104:105], -v[108:109]
	;; [unrolled: 1-line block ×3, first 2 shown]
	v_add_f64_e32 v[136:137], v[189:190], v[136:137]
	v_add_f64_e32 v[138:139], v[195:196], v[138:139]
	;; [unrolled: 1-line block ×4, first 2 shown]
	v_fma_f64 v[128:129], v[191:192], s[10:11], v[124:125]
	v_fma_f64 v[124:125], v[191:192], s[2:3], v[124:125]
	;; [unrolled: 1-line block ×14, first 2 shown]
	v_add_f64_e32 v[148:149], v[148:149], v[150:151]
	v_add_f64_e32 v[150:151], v[154:155], v[173:174]
	v_fma_f64 v[169:170], v[159:160], s[18:19], v[169:170]
	v_fma_f64 v[144:145], v[159:160], s[18:19], v[144:145]
	v_add_f64_e32 v[120:121], v[120:121], v[152:153]
	v_add_f64_e32 v[122:123], v[122:123], v[175:176]
	;; [unrolled: 1-line block ×4, first 2 shown]
	v_fma_f64 v[128:129], v[193:194], s[16:17], v[128:129]
	v_fma_f64 v[124:125], v[193:194], s[14:15], v[124:125]
	;; [unrolled: 1-line block ×8, first 2 shown]
	v_mul_f64_e32 v[154:155], s[20:21], v[171:172]
	v_mul_f64_e32 v[138:139], s[10:11], v[167:168]
	;; [unrolled: 1-line block ×8, first 2 shown]
	v_add_f64_e32 v[104:105], v[104:105], v[108:109]
	v_add_f64_e32 v[106:107], v[106:107], v[110:111]
	;; [unrolled: 1-line block ×4, first 2 shown]
	v_fma_f64 v[128:129], v[148:149], s[18:19], v[128:129]
	v_fma_f64 v[124:125], v[148:149], s[18:19], v[124:125]
	;; [unrolled: 1-line block ×8, first 2 shown]
	v_fma_f64 v[140:141], v[140:141], s[16:17], -v[154:155]
	v_fma_f64 v[132:133], v[146:147], s[20:21], v[136:137]
	v_fma_f64 v[136:137], v[144:145], s[18:19], v[138:139]
	v_fma_f64 v[146:147], v[169:170], s[2:3], -v[161:162]
	v_fma_f64 v[138:139], v[142:143], s[10:11], -v[152:153]
	v_fma_f64 v[142:143], v[165:166], s[20:21], v[157:158]
	v_fma_f64 v[144:145], v[167:168], s[18:19], v[159:160]
	v_fma_f64 v[152:153], v[171:172], s[14:15], -v[163:164]
	v_add_f64_e32 v[100:101], v[104:105], v[108:109]
	v_add_f64_e32 v[102:103], v[106:107], v[110:111]
	v_add_f64_e64 v[112:113], v[104:105], -v[108:109]
	v_add_f64_e64 v[114:115], v[106:107], -v[110:111]
	v_add_f64_e32 v[120:121], v[124:125], v[140:141]
	v_add_f64_e64 v[124:125], v[124:125], -v[140:141]
	scratch_load_b32 v140, off, off         ; 4-byte Folded Reload
	v_add_f64_e32 v[104:105], v[128:129], v[132:133]
	v_add_f64_e32 v[108:109], v[130:131], v[136:137]
	;; [unrolled: 1-line block ×3, first 2 shown]
	v_add_f64_e64 v[128:129], v[128:129], -v[132:133]
	v_add_f64_e64 v[132:133], v[130:131], -v[136:137]
	v_add_f64_e32 v[116:117], v[148:149], v[138:139]
	v_add_f64_e32 v[106:107], v[173:174], v[142:143]
	;; [unrolled: 1-line block ×4, first 2 shown]
	v_add_f64_e64 v[136:137], v[148:149], -v[138:139]
	v_add_f64_e64 v[130:131], v[173:174], -v[142:143]
	;; [unrolled: 1-line block ×5, first 2 shown]
	s_wait_loadcnt 0x0
	v_lshl_add_u32 v251, v227, 4, v140
	ds_store_b128 v251, v[100:103]
	ds_store_b128 v251, v[104:107] offset:1088
	ds_store_b128 v251, v[108:111] offset:2176
	;; [unrolled: 1-line block ×9, first 2 shown]
	global_wb scope:SCOPE_SE
	s_wait_dscnt 0x0
	s_barrier_signal -1
	s_barrier_wait -1
	global_inv scope:SCOPE_SE
	s_and_saveexec_b32 s1, vcc_lo
	s_cbranch_execz .LBB0_13
; %bb.12:
	global_load_b128 v[140:143], v255, s[8:9] offset:10880
	s_add_nc_u64 s[2:3], s[8:9], 0x2a80
	s_clause 0x3
	global_load_b128 v[144:147], v255, s[2:3] offset:640
	global_load_b128 v[148:151], v255, s[2:3] offset:1280
	;; [unrolled: 1-line block ×4, first 2 shown]
	ds_load_b128 v[161:164], v251
	ds_load_b128 v[165:168], v251 offset:640
	ds_load_b128 v[169:172], v251 offset:1280
	s_wait_loadcnt_dscnt 0x301
	v_mul_f64_e32 v[177:178], v[167:168], v[146:147]
	v_mul_f64_e32 v[173:174], v[163:164], v[142:143]
	;; [unrolled: 1-line block ×4, first 2 shown]
	s_delay_alu instid0(VALU_DEP_4) | instskip(NEXT) | instid1(VALU_DEP_4)
	v_fma_f64 v[165:166], v[165:166], v[144:145], -v[177:178]
	v_fma_f64 v[161:162], v[161:162], v[140:141], -v[173:174]
	s_delay_alu instid0(VALU_DEP_4)
	v_fma_f64 v[163:164], v[163:164], v[140:141], v[142:143]
	ds_load_b128 v[140:143], v251 offset:1920
	global_load_b128 v[173:176], v255, s[2:3] offset:3200
	v_fma_f64 v[167:168], v[167:168], v[144:145], v[146:147]
	s_wait_loadcnt_dscnt 0x301
	v_mul_f64_e32 v[144:145], v[171:172], v[150:151]
	v_mul_f64_e32 v[146:147], v[169:170], v[150:151]
	s_wait_loadcnt_dscnt 0x200
	v_mul_f64_e32 v[177:178], v[142:143], v[154:155]
	v_mul_f64_e32 v[154:155], v[140:141], v[154:155]
	s_delay_alu instid0(VALU_DEP_4) | instskip(NEXT) | instid1(VALU_DEP_4)
	v_fma_f64 v[144:145], v[169:170], v[148:149], -v[144:145]
	v_fma_f64 v[146:147], v[171:172], v[148:149], v[146:147]
	ds_load_b128 v[148:151], v251 offset:2560
	ds_load_b128 v[169:172], v251 offset:3200
	v_fma_f64 v[140:141], v[140:141], v[152:153], -v[177:178]
	v_fma_f64 v[142:143], v[142:143], v[152:153], v[154:155]
	global_load_b128 v[152:155], v255, s[2:3] offset:3840
	s_wait_loadcnt_dscnt 0x201
	v_mul_f64_e32 v[177:178], v[150:151], v[159:160]
	v_mul_f64_e32 v[159:160], v[148:149], v[159:160]
	s_delay_alu instid0(VALU_DEP_2) | instskip(NEXT) | instid1(VALU_DEP_2)
	v_fma_f64 v[148:149], v[148:149], v[157:158], -v[177:178]
	v_fma_f64 v[150:151], v[150:151], v[157:158], v[159:160]
	global_load_b128 v[157:160], v255, s[2:3] offset:4480
	s_wait_loadcnt_dscnt 0x200
	v_mul_f64_e32 v[177:178], v[171:172], v[175:176]
	v_mul_f64_e32 v[175:176], v[169:170], v[175:176]
	s_delay_alu instid0(VALU_DEP_2) | instskip(NEXT) | instid1(VALU_DEP_2)
	v_fma_f64 v[169:170], v[169:170], v[173:174], -v[177:178]
	v_fma_f64 v[171:172], v[171:172], v[173:174], v[175:176]
	ds_load_b128 v[173:176], v251 offset:3840
	ds_load_b128 v[177:180], v251 offset:4480
	s_wait_loadcnt_dscnt 0x101
	v_mul_f64_e32 v[181:182], v[175:176], v[154:155]
	v_mul_f64_e32 v[154:155], v[173:174], v[154:155]
	s_delay_alu instid0(VALU_DEP_2) | instskip(NEXT) | instid1(VALU_DEP_2)
	v_fma_f64 v[173:174], v[173:174], v[152:153], -v[181:182]
	v_fma_f64 v[175:176], v[175:176], v[152:153], v[154:155]
	s_wait_loadcnt_dscnt 0x0
	v_mul_f64_e32 v[152:153], v[179:180], v[159:160]
	v_mul_f64_e32 v[154:155], v[177:178], v[159:160]
	s_delay_alu instid0(VALU_DEP_2) | instskip(NEXT) | instid1(VALU_DEP_2)
	v_fma_f64 v[152:153], v[177:178], v[157:158], -v[152:153]
	v_fma_f64 v[154:155], v[179:180], v[157:158], v[154:155]
	s_clause 0x1
	global_load_b128 v[157:160], v255, s[2:3] offset:5120
	global_load_b128 v[177:180], v255, s[2:3] offset:5760
	ds_load_b128 v[181:184], v251 offset:5120
	ds_load_b128 v[185:188], v251 offset:5760
	s_wait_loadcnt_dscnt 0x101
	v_mul_f64_e32 v[189:190], v[183:184], v[159:160]
	v_mul_f64_e32 v[159:160], v[181:182], v[159:160]
	s_delay_alu instid0(VALU_DEP_2) | instskip(NEXT) | instid1(VALU_DEP_2)
	v_fma_f64 v[181:182], v[181:182], v[157:158], -v[189:190]
	v_fma_f64 v[183:184], v[183:184], v[157:158], v[159:160]
	s_wait_loadcnt_dscnt 0x0
	v_mul_f64_e32 v[157:158], v[187:188], v[179:180]
	v_mul_f64_e32 v[159:160], v[185:186], v[179:180]
	s_delay_alu instid0(VALU_DEP_2) | instskip(NEXT) | instid1(VALU_DEP_2)
	v_fma_f64 v[157:158], v[185:186], v[177:178], -v[157:158]
	v_fma_f64 v[159:160], v[187:188], v[177:178], v[159:160]
	s_clause 0x1
	global_load_b128 v[177:180], v255, s[2:3] offset:6400
	global_load_b128 v[185:188], v255, s[2:3] offset:7040
	;; [unrolled: 17-line block ×4, first 2 shown]
	ds_load_b128 v[205:208], v251 offset:8960
	ds_load_b128 v[209:212], v251 offset:9600
	s_wait_loadcnt_dscnt 0x101
	v_mul_f64_e32 v[213:214], v[207:208], v[195:196]
	v_mul_f64_e32 v[195:196], v[205:206], v[195:196]
	s_delay_alu instid0(VALU_DEP_2) | instskip(NEXT) | instid1(VALU_DEP_2)
	v_fma_f64 v[205:206], v[205:206], v[193:194], -v[213:214]
	v_fma_f64 v[207:208], v[207:208], v[193:194], v[195:196]
	s_wait_loadcnt_dscnt 0x0
	v_mul_f64_e32 v[193:194], v[211:212], v[203:204]
	v_mul_f64_e32 v[195:196], v[209:210], v[203:204]
	s_delay_alu instid0(VALU_DEP_2) | instskip(NEXT) | instid1(VALU_DEP_2)
	v_fma_f64 v[193:194], v[209:210], v[201:202], -v[193:194]
	v_fma_f64 v[195:196], v[211:212], v[201:202], v[195:196]
	global_load_b128 v[201:204], v255, s[2:3] offset:10240
	ds_load_b128 v[209:212], v251 offset:10240
	s_wait_loadcnt_dscnt 0x0
	v_mul_f64_e32 v[213:214], v[211:212], v[203:204]
	v_mul_f64_e32 v[203:204], v[209:210], v[203:204]
	s_delay_alu instid0(VALU_DEP_2) | instskip(NEXT) | instid1(VALU_DEP_2)
	v_fma_f64 v[209:210], v[209:210], v[201:202], -v[213:214]
	v_fma_f64 v[211:212], v[211:212], v[201:202], v[203:204]
	ds_store_b128 v251, v[161:164]
	ds_store_b128 v251, v[165:168] offset:640
	ds_store_b128 v251, v[144:147] offset:1280
	;; [unrolled: 1-line block ×16, first 2 shown]
.LBB0_13:
	s_wait_alu 0xfffe
	s_or_b32 exec_lo, exec_lo, s1
	global_wb scope:SCOPE_SE
	s_wait_dscnt 0x0
	s_barrier_signal -1
	s_barrier_wait -1
	global_inv scope:SCOPE_SE
	s_and_saveexec_b32 s1, vcc_lo
	s_cbranch_execz .LBB0_15
; %bb.14:
	ds_load_b128 v[100:103], v251
	ds_load_b128 v[104:107], v251 offset:640
	ds_load_b128 v[108:111], v251 offset:1280
	;; [unrolled: 1-line block ×16, first 2 shown]
.LBB0_15:
	s_wait_alu 0xfffe
	s_or_b32 exec_lo, exec_lo, s1
	s_wait_dscnt 0x0
	v_add_f64_e64 v[195:196], v[106:107], -v[2:3]
	s_mov_b32 s10, 0x6c9a05f6
	s_mov_b32 s11, 0xbfe9895b
	v_add_f64_e32 v[189:190], v[0:1], v[104:105]
	v_add_f64_e64 v[159:160], v[110:111], -v[6:7]
	s_mov_b32 s2, 0x6ed5f1bb
	s_mov_b32 s16, 0x923c349f
	;; [unrolled: 1-line block ×4, first 2 shown]
	v_add_f64_e32 v[157:158], v[4:5], v[108:109]
	v_add_f64_e32 v[161:162], v[6:7], v[110:111]
	s_mov_b32 s14, 0xc61f0d01
	s_mov_b32 s15, 0xbfd183b1
	v_add_f64_e32 v[229:230], v[2:3], v[106:107]
	v_add_f64_e64 v[231:232], v[104:105], -v[0:1]
	v_add_f64_e64 v[167:168], v[108:109], -v[4:5]
	;; [unrolled: 1-line block ×3, first 2 shown]
	s_mov_b32 s22, 0x5d8e7cdc
	s_mov_b32 s23, 0x3fd71e95
	;; [unrolled: 1-line block ×3, first 2 shown]
	s_wait_alu 0xfffe
	s_mov_b32 s28, s22
	v_add_f64_e32 v[163:164], v[116:117], v[8:9]
	s_mov_b32 s18, 0x370991
	s_mov_b32 s44, 0x7c9e640b
	;; [unrolled: 1-line block ×4, first 2 shown]
	v_add_f64_e32 v[169:170], v[118:119], v[10:11]
	v_add_f64_e64 v[175:176], v[116:117], -v[8:9]
	v_add_f64_e64 v[173:174], v[122:123], -v[14:15]
	s_mov_b32 s24, 0x4363dd80
	s_mov_b32 s25, 0xbfe0d888
	v_add_f64_e32 v[171:172], v[120:121], v[12:13]
	s_mov_b32 s20, 0x910ea3b9
	s_mov_b32 s42, 0x2b2883cd
	;; [unrolled: 1-line block ×4, first 2 shown]
	v_add_f64_e32 v[177:178], v[122:123], v[14:15]
	v_add_f64_e64 v[183:184], v[120:121], -v[12:13]
	v_mul_f64_e32 v[140:141], s[10:11], v[195:196]
	v_add_f64_e64 v[181:182], v[114:115], -v[18:19]
	s_mov_b32 s30, 0xeb564b22
	s_mov_b32 s31, 0xbfefdd0d
	v_mul_f64_e32 v[142:143], s[16:17], v[159:160]
	s_wait_alu 0xfffe
	v_mul_f64_e32 v[146:147], s[44:45], v[159:160]
	s_mov_b32 s53, 0x3fefdd0d
	s_mov_b32 s52, s30
	v_add_f64_e32 v[179:180], v[16:17], v[112:113]
	s_mov_b32 s26, 0x3259b75e
	v_mul_f64_e32 v[144:145], s[14:15], v[161:162]
	v_mul_f64_e32 v[148:149], s[42:43], v[161:162]
	s_mov_b32 s27, 0x3fb79ee6
	v_add_f64_e32 v[185:186], v[18:19], v[114:115]
	v_add_f64_e64 v[193:194], v[112:113], -v[16:17]
	v_add_f64_e64 v[191:192], v[130:131], -v[94:95]
	s_mov_b32 s48, 0x2a9d6da3
	s_mov_b32 s49, 0x3fe58eea
	;; [unrolled: 1-line block ×3, first 2 shown]
	s_wait_alu 0xfffe
	s_mov_b32 s38, s48
	v_add_f64_e32 v[187:188], v[92:93], v[128:129]
	s_mov_b32 s34, 0x75d4884
	s_mov_b32 s35, 0x3fe7a5f6
	v_add_f64_e32 v[197:198], v[94:95], v[130:131]
	v_add_f64_e64 v[209:210], v[128:129], -v[92:93]
	v_add_f64_e64 v[207:208], v[134:135], -v[98:99]
	s_mov_b32 s40, 0xacd6c6b4
	s_mov_b32 s41, 0xbfc7851a
	v_add_f64_e32 v[199:200], v[132:133], v[96:97]
	s_mov_b32 s36, 0x7faef3
	s_mov_b32 s37, 0xbfef7484
	v_add_f64_e32 v[203:204], v[134:135], v[98:99]
	v_add_f64_e64 v[217:218], v[132:133], -v[96:97]
	v_add_f64_e64 v[215:216], v[138:139], -v[126:127]
	v_add_f64_e32 v[205:206], v[136:137], v[124:125]
	v_add_f64_e32 v[211:212], v[138:139], v[126:127]
	v_add_f64_e64 v[219:220], v[136:137], -v[124:125]
	s_mov_b32 s59, 0x3fe9895b
	scratch_store_b64 off, v[140:141], off offset:36 ; 8-byte Folded Spill
	v_fma_f64 v[140:141], v[189:190], s[2:3], -v[140:141]
	s_mov_b32 s58, s10
	s_mov_b32 s47, 0xbfeec746
	scratch_store_b64 off, v[142:143], off offset:44 ; 8-byte Folded Spill
	v_fma_f64 v[142:143], v[157:158], s[14:15], -v[142:143]
	s_mov_b32 s46, s16
	s_wait_alu 0xfffe
	v_mul_f64_e32 v[152:153], s[40:41], v[195:196]
	v_mul_f64_e32 v[154:155], s[22:23], v[159:160]
	;; [unrolled: 1-line block ×3, first 2 shown]
	scratch_store_b64 off, v[144:145], off offset:52 ; 8-byte Folded Spill
	v_fma_f64 v[144:145], v[167:168], s[16:17], v[144:145]
	s_mov_b32 s57, 0x3fc7851a
	s_mov_b32 s56, s40
	v_mul_f64_e32 v[213:214], s[18:19], v[161:162]
	s_mov_b32 s55, 0x3fe0d888
	s_mov_b32 s54, s24
	;; [unrolled: 1-line block ×4, first 2 shown]
	scratch_store_b64 off, v[146:147], off offset:164 ; 8-byte Folded Spill
	v_fma_f64 v[146:147], v[157:158], s[42:43], -v[146:147]
	scratch_store_b64 off, v[148:149], off offset:180 ; 8-byte Folded Spill
	v_fma_f64 v[148:149], v[167:168], s[44:45], v[148:149]
	v_add_f64_e32 v[140:141], v[100:101], v[140:141]
	v_fma_f64 v[150:151], v[157:158], s[18:19], v[154:155]
	v_fma_f64 v[154:155], v[157:158], s[18:19], -v[154:155]
	v_fma_f64 v[221:222], v[167:168], s[28:29], v[213:214]
	s_delay_alu instid0(VALU_DEP_4) | instskip(SKIP_3) | instid1(VALU_DEP_1)
	v_add_f64_e32 v[140:141], v[142:143], v[140:141]
	v_mul_f64_e32 v[142:143], s[2:3], v[229:230]
	scratch_store_b64 off, v[142:143], off offset:84 ; 8-byte Folded Spill
	v_fma_f64 v[142:143], v[231:232], s[10:11], v[142:143]
	v_add_f64_e32 v[142:143], v[102:103], v[142:143]
	s_delay_alu instid0(VALU_DEP_1) | instskip(SKIP_3) | instid1(VALU_DEP_1)
	v_add_f64_e32 v[142:143], v[144:145], v[142:143]
	v_mul_f64_e32 v[144:145], s[28:29], v[165:166]
	scratch_store_b64 off, v[144:145], off offset:60 ; 8-byte Folded Spill
	v_fma_f64 v[144:145], v[163:164], s[18:19], -v[144:145]
	v_add_f64_e32 v[140:141], v[144:145], v[140:141]
	v_mul_f64_e32 v[144:145], s[18:19], v[169:170]
	scratch_store_b64 off, v[144:145], off offset:76 ; 8-byte Folded Spill
	v_fma_f64 v[144:145], v[175:176], s[28:29], v[144:145]
	s_delay_alu instid0(VALU_DEP_1) | instskip(SKIP_3) | instid1(VALU_DEP_1)
	v_add_f64_e32 v[142:143], v[144:145], v[142:143]
	v_mul_f64_e32 v[144:145], s[24:25], v[173:174]
	scratch_store_b64 off, v[144:145], off offset:68 ; 8-byte Folded Spill
	v_fma_f64 v[144:145], v[171:172], s[20:21], -v[144:145]
	v_add_f64_e32 v[140:141], v[144:145], v[140:141]
	v_mul_f64_e32 v[144:145], s[20:21], v[177:178]
	scratch_store_b64 off, v[144:145], off offset:100 ; 8-byte Folded Spill
	v_fma_f64 v[144:145], v[183:184], s[24:25], v[144:145]
	;; [unrolled: 9-line block ×6, first 2 shown]
	s_delay_alu instid0(VALU_DEP_1) | instskip(SKIP_3) | instid1(VALU_DEP_1)
	v_add_f64_e32 v[142:143], v[144:145], v[142:143]
	v_mul_f64_e32 v[144:145], s[24:25], v[195:196]
	scratch_store_b64 off, v[144:145], off offset:276 ; 8-byte Folded Spill
	v_fma_f64 v[144:145], v[189:190], s[20:21], -v[144:145]
	v_add_f64_e32 v[144:145], v[100:101], v[144:145]
	s_delay_alu instid0(VALU_DEP_1) | instskip(SKIP_3) | instid1(VALU_DEP_1)
	v_add_f64_e32 v[144:145], v[146:147], v[144:145]
	v_mul_f64_e32 v[146:147], s[20:21], v[229:230]
	scratch_store_b64 off, v[146:147], off offset:284 ; 8-byte Folded Spill
	v_fma_f64 v[146:147], v[231:232], s[24:25], v[146:147]
	v_add_f64_e32 v[146:147], v[102:103], v[146:147]
	s_delay_alu instid0(VALU_DEP_1) | instskip(SKIP_3) | instid1(VALU_DEP_1)
	v_add_f64_e32 v[146:147], v[148:149], v[146:147]
	v_mul_f64_e32 v[148:149], s[30:31], v[165:166]
	scratch_store_b64 off, v[148:149], off offset:172 ; 8-byte Folded Spill
	v_fma_f64 v[148:149], v[163:164], s[26:27], -v[148:149]
	v_add_f64_e32 v[144:145], v[148:149], v[144:145]
	v_mul_f64_e32 v[148:149], s[26:27], v[169:170]
	scratch_store_b64 off, v[148:149], off offset:212 ; 8-byte Folded Spill
	v_fma_f64 v[148:149], v[175:176], s[30:31], v[148:149]
	s_delay_alu instid0(VALU_DEP_1) | instskip(SKIP_3) | instid1(VALU_DEP_1)
	v_add_f64_e32 v[146:147], v[148:149], v[146:147]
	v_mul_f64_e32 v[148:149], s[58:59], v[173:174]
	scratch_store_b64 off, v[148:149], off offset:188 ; 8-byte Folded Spill
	v_fma_f64 v[148:149], v[171:172], s[2:3], -v[148:149]
	v_add_f64_e32 v[144:145], v[148:149], v[144:145]
	v_mul_f64_e32 v[148:149], s[2:3], v[177:178]
	scratch_store_b64 off, v[148:149], off offset:236 ; 8-byte Folded Spill
	v_fma_f64 v[148:149], v[183:184], s[58:59], v[148:149]
	;; [unrolled: 9-line block ×6, first 2 shown]
	global_wb scope:SCOPE_SE
	s_wait_storecnt 0x0
	s_barrier_signal -1
	s_barrier_wait -1
	global_inv scope:SCOPE_SE
	v_add_f64_e32 v[146:147], v[148:149], v[146:147]
	v_fma_f64 v[148:149], v[189:190], s[36:37], v[152:153]
	v_fma_f64 v[152:153], v[189:190], s[36:37], -v[152:153]
	s_delay_alu instid0(VALU_DEP_2) | instskip(NEXT) | instid1(VALU_DEP_2)
	v_add_f64_e32 v[148:149], v[100:101], v[148:149]
	v_add_f64_e32 v[152:153], v[100:101], v[152:153]
	s_delay_alu instid0(VALU_DEP_2) | instskip(SKIP_1) | instid1(VALU_DEP_3)
	v_add_f64_e32 v[148:149], v[150:151], v[148:149]
	v_fma_f64 v[150:151], v[231:232], s[56:57], v[201:202]
	v_add_f64_e32 v[152:153], v[154:155], v[152:153]
	v_fma_f64 v[154:155], v[231:232], s[40:41], v[201:202]
	v_fma_f64 v[201:202], v[167:168], s[22:23], v[213:214]
	s_delay_alu instid0(VALU_DEP_4) | instskip(NEXT) | instid1(VALU_DEP_3)
	v_add_f64_e32 v[150:151], v[102:103], v[150:151]
	v_add_f64_e32 v[154:155], v[102:103], v[154:155]
	s_delay_alu instid0(VALU_DEP_2) | instskip(SKIP_1) | instid1(VALU_DEP_3)
	v_add_f64_e32 v[150:151], v[221:222], v[150:151]
	v_mul_f64_e32 v[221:222], s[24:25], v[165:166]
	v_add_f64_e32 v[154:155], v[201:202], v[154:155]
	s_delay_alu instid0(VALU_DEP_2) | instskip(SKIP_1) | instid1(VALU_DEP_2)
	v_fma_f64 v[223:224], v[163:164], s[20:21], v[221:222]
	v_fma_f64 v[201:202], v[163:164], s[20:21], -v[221:222]
	v_add_f64_e32 v[148:149], v[223:224], v[148:149]
	v_mul_f64_e32 v[223:224], s[20:21], v[169:170]
	s_delay_alu instid0(VALU_DEP_3) | instskip(NEXT) | instid1(VALU_DEP_2)
	v_add_f64_e32 v[152:153], v[201:202], v[152:153]
	v_fma_f64 v[225:226], v[175:176], s[54:55], v[223:224]
	v_fma_f64 v[201:202], v[175:176], s[24:25], v[223:224]
	s_delay_alu instid0(VALU_DEP_2) | instskip(SKIP_1) | instid1(VALU_DEP_3)
	v_add_f64_e32 v[150:151], v[225:226], v[150:151]
	v_mul_f64_e32 v[225:226], s[48:49], v[173:174]
	v_add_f64_e32 v[154:155], v[201:202], v[154:155]
	s_delay_alu instid0(VALU_DEP_2) | instskip(SKIP_1) | instid1(VALU_DEP_2)
	v_fma_f64 v[227:228], v[171:172], s[34:35], v[225:226]
	v_fma_f64 v[201:202], v[171:172], s[34:35], -v[225:226]
	v_add_f64_e32 v[148:149], v[227:228], v[148:149]
	v_mul_f64_e32 v[227:228], s[34:35], v[177:178]
	s_delay_alu instid0(VALU_DEP_3) | instskip(NEXT) | instid1(VALU_DEP_2)
	v_add_f64_e32 v[152:153], v[201:202], v[152:153]
	v_fma_f64 v[233:234], v[183:184], s[38:39], v[227:228]
	v_fma_f64 v[201:202], v[183:184], s[48:49], v[227:228]
	;; [unrolled: 13-line block ×3, first 2 shown]
	s_delay_alu instid0(VALU_DEP_2) | instskip(SKIP_1) | instid1(VALU_DEP_3)
	v_add_f64_e32 v[150:151], v[237:238], v[150:151]
	v_mul_f64_e32 v[237:238], s[44:45], v[191:192]
	v_add_f64_e32 v[154:155], v[201:202], v[154:155]
	s_delay_alu instid0(VALU_DEP_2) | instskip(SKIP_1) | instid1(VALU_DEP_2)
	v_fma_f64 v[239:240], v[187:188], s[42:43], v[237:238]
	v_fma_f64 v[201:202], v[187:188], s[42:43], -v[237:238]
	v_add_f64_e32 v[148:149], v[239:240], v[148:149]
	v_mul_f64_e32 v[239:240], s[42:43], v[197:198]
	s_delay_alu instid0(VALU_DEP_3) | instskip(SKIP_1) | instid1(VALU_DEP_2)
	v_add_f64_e32 v[152:153], v[201:202], v[152:153]
	s_wait_alu 0xfffe
	v_fma_f64 v[241:242], v[209:210], s[50:51], v[239:240]
	v_fma_f64 v[201:202], v[209:210], s[44:45], v[239:240]
	s_delay_alu instid0(VALU_DEP_2) | instskip(SKIP_1) | instid1(VALU_DEP_3)
	v_add_f64_e32 v[150:151], v[241:242], v[150:151]
	v_mul_f64_e32 v[241:242], s[46:47], v[207:208]
	v_add_f64_e32 v[154:155], v[201:202], v[154:155]
	s_delay_alu instid0(VALU_DEP_2) | instskip(SKIP_1) | instid1(VALU_DEP_2)
	v_fma_f64 v[243:244], v[199:200], s[14:15], v[241:242]
	v_fma_f64 v[201:202], v[199:200], s[14:15], -v[241:242]
	v_add_f64_e32 v[148:149], v[243:244], v[148:149]
	v_mul_f64_e32 v[243:244], s[14:15], v[203:204]
	s_delay_alu instid0(VALU_DEP_3) | instskip(NEXT) | instid1(VALU_DEP_2)
	v_add_f64_e32 v[152:153], v[201:202], v[152:153]
	v_fma_f64 v[245:246], v[217:218], s[16:17], v[243:244]
	v_fma_f64 v[201:202], v[217:218], s[46:47], v[243:244]
	s_delay_alu instid0(VALU_DEP_2) | instskip(SKIP_1) | instid1(VALU_DEP_3)
	v_add_f64_e32 v[150:151], v[245:246], v[150:151]
	v_mul_f64_e32 v[245:246], s[52:53], v[215:216]
	v_add_f64_e32 v[154:155], v[201:202], v[154:155]
	s_delay_alu instid0(VALU_DEP_2) | instskip(SKIP_1) | instid1(VALU_DEP_2)
	v_fma_f64 v[247:248], v[205:206], s[26:27], v[245:246]
	v_fma_f64 v[201:202], v[205:206], s[26:27], -v[245:246]
	v_add_f64_e32 v[148:149], v[247:248], v[148:149]
	v_mul_f64_e32 v[247:248], s[26:27], v[211:212]
	s_delay_alu instid0(VALU_DEP_3) | instskip(NEXT) | instid1(VALU_DEP_2)
	v_add_f64_e32 v[152:153], v[201:202], v[152:153]
	v_fma_f64 v[249:250], v[219:220], s[30:31], v[247:248]
	v_fma_f64 v[213:214], v[219:220], s[52:53], v[247:248]
	s_delay_alu instid0(VALU_DEP_2) | instskip(NEXT) | instid1(VALU_DEP_2)
	v_add_f64_e32 v[150:151], v[249:250], v[150:151]
	v_add_f64_e32 v[154:155], v[213:214], v[154:155]
	s_and_saveexec_b32 s1, vcc_lo
	s_cbranch_execz .LBB0_17
; %bb.16:
	v_add_f64_e32 v[106:107], v[102:103], v[106:107]
	v_add_f64_e32 v[104:105], v[100:101], v[104:105]
	v_mul_f64_e32 v[223:224], s[10:11], v[219:220]
	v_mul_f64_e32 v[225:226], s[10:11], v[215:216]
	s_delay_alu instid0(VALU_DEP_4) | instskip(NEXT) | instid1(VALU_DEP_4)
	v_add_f64_e32 v[106:107], v[110:111], v[106:107]
	v_add_f64_e32 v[104:105], v[108:109], v[104:105]
	v_mul_f64_e32 v[108:109], s[46:47], v[195:196]
	v_mul_f64_e32 v[110:111], s[30:31], v[195:196]
	s_delay_alu instid0(VALU_DEP_4) | instskip(NEXT) | instid1(VALU_DEP_4)
	v_add_f64_e32 v[106:107], v[118:119], v[106:107]
	v_add_f64_e32 v[104:105], v[116:117], v[104:105]
	v_mul_f64_e32 v[116:117], s[28:29], v[195:196]
	v_fma_f64 v[118:119], v[189:190], s[14:15], -v[108:109]
	v_fma_f64 v[108:109], v[189:190], s[14:15], v[108:109]
	v_add_f64_e32 v[106:107], v[122:123], v[106:107]
	v_add_f64_e32 v[104:105], v[120:121], v[104:105]
	v_fma_f64 v[120:121], v[189:190], s[26:27], -v[110:111]
	v_fma_f64 v[110:111], v[189:190], s[26:27], v[110:111]
	v_add_f64_e32 v[118:119], v[100:101], v[118:119]
	v_add_f64_e32 v[108:109], v[100:101], v[108:109]
	;; [unrolled: 1-line block ×4, first 2 shown]
	v_mul_f64_e32 v[112:113], s[50:51], v[195:196]
	v_mul_f64_e32 v[114:115], s[38:39], v[195:196]
	v_add_f64_e32 v[120:121], v[100:101], v[120:121]
	v_add_f64_e32 v[110:111], v[100:101], v[110:111]
	;; [unrolled: 1-line block ×4, first 2 shown]
	v_fma_f64 v[122:123], v[189:190], s[42:43], -v[112:113]
	v_fma_f64 v[112:113], v[189:190], s[42:43], v[112:113]
	s_delay_alu instid0(VALU_DEP_4) | instskip(NEXT) | instid1(VALU_DEP_4)
	v_add_f64_e32 v[106:107], v[134:135], v[106:107]
	v_add_f64_e32 v[104:105], v[132:133], v[104:105]
	s_delay_alu instid0(VALU_DEP_4) | instskip(NEXT) | instid1(VALU_DEP_4)
	v_add_f64_e32 v[122:123], v[100:101], v[122:123]
	v_add_f64_e32 v[112:113], v[100:101], v[112:113]
	;; [unrolled: 3-line block ×3, first 2 shown]
	s_delay_alu instid0(VALU_DEP_2) | instskip(NEXT) | instid1(VALU_DEP_2)
	v_add_f64_e32 v[106:107], v[126:127], v[106:107]
	v_add_f64_e32 v[104:105], v[124:125], v[104:105]
	v_fma_f64 v[124:125], v[189:190], s[34:35], -v[114:115]
	v_fma_f64 v[114:115], v[189:190], s[34:35], v[114:115]
	v_fma_f64 v[126:127], v[189:190], s[18:19], -v[116:117]
	v_fma_f64 v[116:117], v[189:190], s[18:19], v[116:117]
	v_add_f64_e32 v[98:99], v[98:99], v[106:107]
	v_add_f64_e32 v[96:97], v[96:97], v[104:105]
	;; [unrolled: 1-line block ×8, first 2 shown]
	s_delay_alu instid0(VALU_DEP_2) | instskip(NEXT) | instid1(VALU_DEP_2)
	v_add_f64_e32 v[18:19], v[18:19], v[94:95]
	v_add_f64_e32 v[16:17], v[16:17], v[92:93]
	v_mul_f64_e32 v[92:93], s[28:29], v[231:232]
	s_delay_alu instid0(VALU_DEP_3) | instskip(NEXT) | instid1(VALU_DEP_3)
	v_add_f64_e32 v[14:15], v[14:15], v[18:19]
	v_add_f64_e32 v[12:13], v[12:13], v[16:17]
	v_mul_f64_e32 v[16:17], s[50:51], v[231:232]
	v_mul_f64_e32 v[18:19], s[38:39], v[231:232]
	v_fma_f64 v[106:107], v[229:230], s[18:19], v[92:93]
	v_fma_f64 v[92:93], v[229:230], s[18:19], -v[92:93]
	v_add_f64_e32 v[10:11], v[10:11], v[14:15]
	v_add_f64_e32 v[8:9], v[8:9], v[12:13]
	v_fma_f64 v[98:99], v[229:230], s[42:43], v[16:17]
	v_fma_f64 v[104:105], v[229:230], s[34:35], v[18:19]
	v_mul_f64_e32 v[14:15], s[30:31], v[231:232]
	v_fma_f64 v[16:17], v[229:230], s[42:43], -v[16:17]
	v_fma_f64 v[18:19], v[229:230], s[34:35], -v[18:19]
	v_add_f64_e32 v[195:196], v[102:103], v[92:93]
	scratch_load_b64 v[92:93], off, off offset:244 th:TH_LOAD_LU ; 8-byte Folded Reload
	v_add_f64_e32 v[6:7], v[6:7], v[10:11]
	v_add_f64_e32 v[4:5], v[4:5], v[8:9]
	s_clause 0x1
	scratch_load_b64 v[8:9], off, off offset:276 th:TH_LOAD_LU
	scratch_load_b64 v[10:11], off, off offset:84 th:TH_LOAD_LU
	v_add_f64_e32 v[132:133], v[102:103], v[98:99]
	v_add_f64_e32 v[136:137], v[102:103], v[104:105]
	s_clause 0x2
	scratch_load_b64 v[104:105], off, off offset:164 th:TH_LOAD_LU
	scratch_load_b64 v[12:13], off, off offset:36 th:TH_LOAD_LU
	;; [unrolled: 1-line block ×3, first 2 shown]
	v_fma_f64 v[96:97], v[229:230], s[26:27], v[14:15]
	v_fma_f64 v[14:15], v[229:230], s[26:27], -v[14:15]
	v_add_f64_e32 v[134:135], v[102:103], v[16:17]
	v_add_f64_e32 v[138:139], v[102:103], v[18:19]
	s_clause 0x1
	scratch_load_b64 v[16:17], off, off offset:260 th:TH_LOAD_LU
	scratch_load_b64 v[18:19], off, off offset:252 th:TH_LOAD_LU
	v_add_f64_e32 v[2:3], v[2:3], v[6:7]
	scratch_load_b64 v[6:7], off, off offset:284 th:TH_LOAD_LU ; 8-byte Folded Reload
	v_add_f64_e32 v[0:1], v[0:1], v[4:5]
	v_mul_f64_e32 v[4:5], s[24:25], v[231:232]
	v_add_f64_e32 v[96:97], v[102:103], v[96:97]
	v_add_f64_e32 v[130:131], v[102:103], v[14:15]
	scratch_load_b64 v[14:15], off, off offset:268 th:TH_LOAD_LU ; 8-byte Folded Reload
	s_wait_loadcnt 0x1
	v_add_f64_e64 v[4:5], v[6:7], -v[4:5]
	v_mul_f64_e32 v[6:7], s[20:21], v[189:190]
	s_delay_alu instid0(VALU_DEP_2) | instskip(NEXT) | instid1(VALU_DEP_2)
	v_add_f64_e32 v[4:5], v[102:103], v[4:5]
	v_add_f64_e32 v[6:7], v[6:7], v[8:9]
	v_mul_f64_e32 v[8:9], s[10:11], v[231:232]
	s_delay_alu instid0(VALU_DEP_2) | instskip(NEXT) | instid1(VALU_DEP_2)
	v_add_f64_e32 v[6:7], v[100:101], v[6:7]
	v_add_f64_e64 v[8:9], v[10:11], -v[8:9]
	v_mul_f64_e32 v[10:11], s[2:3], v[189:190]
	v_add_f64_e32 v[189:190], v[102:103], v[106:107]
	scratch_load_b64 v[106:107], off, off offset:172 th:TH_LOAD_LU ; 8-byte Folded Reload
	v_add_f64_e32 v[8:9], v[102:103], v[8:9]
	v_add_f64_e32 v[10:11], v[10:11], v[12:13]
	v_mul_f64_e32 v[12:13], s[46:47], v[231:232]
	s_delay_alu instid0(VALU_DEP_2) | instskip(NEXT) | instid1(VALU_DEP_2)
	v_add_f64_e32 v[10:11], v[100:101], v[10:11]
	v_fma_f64 v[94:95], v[229:230], s[14:15], v[12:13]
	v_fma_f64 v[12:13], v[229:230], s[14:15], -v[12:13]
	scratch_load_b64 v[100:101], off, off offset:212 th:TH_LOAD_LU ; 8-byte Folded Reload
	v_add_f64_e32 v[94:95], v[102:103], v[94:95]
	v_add_f64_e32 v[128:129], v[102:103], v[12:13]
	scratch_load_b64 v[102:103], off, off offset:180 th:TH_LOAD_LU ; 8-byte Folded Reload
	v_mul_f64_e32 v[12:13], s[46:47], v[219:220]
	s_wait_loadcnt 0x3
	s_delay_alu instid0(VALU_DEP_1) | instskip(SKIP_1) | instid1(VALU_DEP_1)
	v_add_f64_e64 v[12:13], v[14:15], -v[12:13]
	v_mul_f64_e32 v[14:15], s[48:49], v[217:218]
	v_add_f64_e64 v[14:15], v[16:17], -v[14:15]
	v_mul_f64_e32 v[16:17], s[40:41], v[209:210]
	s_delay_alu instid0(VALU_DEP_1) | instskip(SKIP_1) | instid1(VALU_DEP_1)
	v_add_f64_e64 v[16:17], v[18:19], -v[16:17]
	v_mul_f64_e32 v[18:19], s[28:29], v[193:194]
	v_add_f64_e64 v[18:19], v[92:93], -v[18:19]
	v_mul_f64_e32 v[92:93], s[58:59], v[183:184]
	s_delay_alu instid0(VALU_DEP_1) | instskip(SKIP_2) | instid1(VALU_DEP_1)
	v_add_f64_e64 v[92:93], v[98:99], -v[92:93]
	v_mul_f64_e32 v[98:99], s[30:31], v[175:176]
	s_wait_loadcnt 0x1
	v_add_f64_e64 v[98:99], v[100:101], -v[98:99]
	v_mul_f64_e32 v[100:101], s[44:45], v[167:168]
	s_wait_loadcnt 0x0
	s_delay_alu instid0(VALU_DEP_1) | instskip(SKIP_1) | instid1(VALU_DEP_2)
	v_add_f64_e64 v[100:101], v[102:103], -v[100:101]
	v_mul_f64_e32 v[102:103], s[42:43], v[157:158]
	v_add_f64_e32 v[4:5], v[100:101], v[4:5]
	s_delay_alu instid0(VALU_DEP_2) | instskip(SKIP_2) | instid1(VALU_DEP_4)
	v_add_f64_e32 v[102:103], v[102:103], v[104:105]
	v_mul_f64_e32 v[104:105], s[26:27], v[163:164]
	v_mul_f64_e32 v[100:101], s[2:3], v[171:172]
	v_add_f64_e32 v[4:5], v[98:99], v[4:5]
	s_delay_alu instid0(VALU_DEP_4)
	v_add_f64_e32 v[6:7], v[102:103], v[6:7]
	scratch_load_b64 v[102:103], off, off offset:188 th:TH_LOAD_LU ; 8-byte Folded Reload
	v_add_f64_e32 v[104:105], v[104:105], v[106:107]
	v_mul_f64_e32 v[98:99], s[18:19], v[179:180]
	scratch_load_b64 v[106:107], off, off offset:60 th:TH_LOAD_LU ; 8-byte Folded Reload
	v_add_f64_e32 v[4:5], v[92:93], v[4:5]
	v_mul_f64_e32 v[92:93], s[36:37], v[187:188]
	v_add_f64_e32 v[6:7], v[104:105], v[6:7]
	scratch_load_b64 v[104:105], off, off offset:44 th:TH_LOAD_LU ; 8-byte Folded Reload
	v_add_f64_e32 v[4:5], v[18:19], v[4:5]
	v_mul_f64_e32 v[18:19], s[34:35], v[199:200]
	s_delay_alu instid0(VALU_DEP_2) | instskip(SKIP_1) | instid1(VALU_DEP_2)
	v_add_f64_e32 v[4:5], v[16:17], v[4:5]
	v_mul_f64_e32 v[16:17], s[14:15], v[205:206]
	v_add_f64_e32 v[4:5], v[14:15], v[4:5]
	s_wait_loadcnt 0x2
	v_add_f64_e32 v[100:101], v[100:101], v[102:103]
	scratch_load_b64 v[102:103], off, off offset:196 th:TH_LOAD_LU ; 8-byte Folded Reload
	v_add_f64_e32 v[6:7], v[100:101], v[6:7]
	scratch_load_b64 v[100:101], off, off offset:204 th:TH_LOAD_LU ; 8-byte Folded Reload
	s_wait_loadcnt 0x1
	v_add_f64_e32 v[98:99], v[98:99], v[102:103]
	scratch_load_b64 v[102:103], off, off offset:52 th:TH_LOAD_LU ; 8-byte Folded Reload
	s_wait_loadcnt 0x1
	v_add_f64_e32 v[92:93], v[92:93], v[100:101]
	v_add_f64_e32 v[6:7], v[98:99], v[6:7]
	s_clause 0x1
	scratch_load_b64 v[98:99], off, off offset:220 th:TH_LOAD_LU
	scratch_load_b64 v[100:101], off, off offset:76 th:TH_LOAD_LU
	v_add_f64_e32 v[6:7], v[92:93], v[6:7]
	scratch_load_b64 v[92:93], off, off offset:228 th:TH_LOAD_LU ; 8-byte Folded Reload
	s_wait_loadcnt 0x2
	v_add_f64_e32 v[18:19], v[18:19], v[98:99]
	scratch_load_b64 v[98:99], off, off offset:100 th:TH_LOAD_LU ; 8-byte Folded Reload
	s_wait_loadcnt 0x1
	v_add_f64_e32 v[16:17], v[16:17], v[92:93]
	v_add_f64_e32 v[14:15], v[18:19], v[6:7]
	;; [unrolled: 1-line block ×3, first 2 shown]
	s_clause 0x1
	scratch_load_b64 v[18:19], off, off offset:132 th:TH_LOAD_LU
	scratch_load_b64 v[92:93], off, off offset:116 th:TH_LOAD_LU
	v_mul_f64_e32 v[12:13], s[44:45], v[219:220]
	v_add_f64_e32 v[4:5], v[16:17], v[14:15]
	s_clause 0x1
	scratch_load_b64 v[14:15], off, off offset:156 th:TH_LOAD_LU
	scratch_load_b64 v[16:17], off, off offset:148 th:TH_LOAD_LU
	s_wait_loadcnt 0x1
	v_add_f64_e64 v[12:13], v[14:15], -v[12:13]
	v_mul_f64_e32 v[14:15], s[40:41], v[217:218]
	s_wait_loadcnt 0x0
	s_delay_alu instid0(VALU_DEP_1) | instskip(SKIP_1) | instid1(VALU_DEP_1)
	v_add_f64_e64 v[14:15], v[16:17], -v[14:15]
	v_mul_f64_e32 v[16:17], s[38:39], v[209:210]
	v_add_f64_e64 v[16:17], v[18:19], -v[16:17]
	v_mul_f64_e32 v[18:19], s[52:53], v[193:194]
	s_delay_alu instid0(VALU_DEP_1) | instskip(SKIP_1) | instid1(VALU_DEP_1)
	v_add_f64_e64 v[18:19], v[92:93], -v[18:19]
	v_mul_f64_e32 v[92:93], s[24:25], v[183:184]
	v_add_f64_e64 v[92:93], v[98:99], -v[92:93]
	v_mul_f64_e32 v[98:99], s[28:29], v[175:176]
	;; [unrolled: 5-line block ×3, first 2 shown]
	s_delay_alu instid0(VALU_DEP_2) | instskip(NEXT) | instid1(VALU_DEP_2)
	v_add_f64_e32 v[8:9], v[100:101], v[8:9]
	v_add_f64_e32 v[102:103], v[102:103], v[104:105]
	v_mul_f64_e32 v[104:105], s[18:19], v[163:164]
	v_mul_f64_e32 v[100:101], s[20:21], v[171:172]
	s_delay_alu instid0(VALU_DEP_4) | instskip(NEXT) | instid1(VALU_DEP_4)
	v_add_f64_e32 v[8:9], v[98:99], v[8:9]
	v_add_f64_e32 v[10:11], v[102:103], v[10:11]
	scratch_load_b64 v[102:103], off, off offset:68 th:TH_LOAD_LU ; 8-byte Folded Reload
	v_add_f64_e32 v[104:105], v[104:105], v[106:107]
	v_mul_f64_e32 v[98:99], s[26:27], v[179:180]
	v_add_f64_e32 v[8:9], v[92:93], v[8:9]
	v_mul_f64_e32 v[92:93], s[34:35], v[187:188]
	s_delay_alu instid0(VALU_DEP_4) | instskip(NEXT) | instid1(VALU_DEP_3)
	v_add_f64_e32 v[10:11], v[104:105], v[10:11]
	v_add_f64_e32 v[8:9], v[18:19], v[8:9]
	v_mul_f64_e32 v[18:19], s[36:37], v[199:200]
	s_delay_alu instid0(VALU_DEP_2) | instskip(SKIP_1) | instid1(VALU_DEP_2)
	v_add_f64_e32 v[8:9], v[16:17], v[8:9]
	v_mul_f64_e32 v[16:17], s[42:43], v[205:206]
	v_add_f64_e32 v[8:9], v[14:15], v[8:9]
	s_wait_loadcnt 0x0
	v_add_f64_e32 v[100:101], v[100:101], v[102:103]
	scratch_load_b64 v[102:103], off, off offset:92 th:TH_LOAD_LU ; 8-byte Folded Reload
	v_add_f64_e32 v[10:11], v[100:101], v[10:11]
	scratch_load_b64 v[100:101], off, off offset:108 th:TH_LOAD_LU ; 8-byte Folded Reload
	s_wait_loadcnt 0x1
	v_add_f64_e32 v[98:99], v[98:99], v[102:103]
	s_wait_loadcnt 0x0
	v_add_f64_e32 v[92:93], v[92:93], v[100:101]
	s_delay_alu instid0(VALU_DEP_2)
	v_add_f64_e32 v[10:11], v[98:99], v[10:11]
	scratch_load_b64 v[98:99], off, off offset:124 th:TH_LOAD_LU ; 8-byte Folded Reload
	v_add_f64_e32 v[10:11], v[92:93], v[10:11]
	scratch_load_b64 v[92:93], off, off offset:140 th:TH_LOAD_LU ; 8-byte Folded Reload
	s_wait_loadcnt 0x1
	v_add_f64_e32 v[18:19], v[18:19], v[98:99]
	s_wait_loadcnt 0x0
	v_add_f64_e32 v[16:17], v[16:17], v[92:93]
	s_delay_alu instid0(VALU_DEP_2) | instskip(SKIP_3) | instid1(VALU_DEP_4)
	v_add_f64_e32 v[14:15], v[18:19], v[10:11]
	v_add_f64_e32 v[10:11], v[12:13], v[8:9]
	v_mul_f64_e32 v[92:93], s[48:49], v[175:176]
	v_mul_f64_e32 v[18:19], s[54:55], v[159:160]
	v_add_f64_e32 v[8:9], v[16:17], v[14:15]
	v_mul_f64_e32 v[16:17], s[54:55], v[167:168]
	s_delay_alu instid0(VALU_DEP_3) | instskip(SKIP_1) | instid1(VALU_DEP_3)
	v_fma_f64 v[14:15], v[157:158], s[20:21], -v[18:19]
	v_fma_f64 v[18:19], v[157:158], s[20:21], v[18:19]
	v_fma_f64 v[12:13], v[161:162], s[20:21], v[16:17]
	v_fma_f64 v[16:17], v[161:162], s[20:21], -v[16:17]
	s_delay_alu instid0(VALU_DEP_4) | instskip(NEXT) | instid1(VALU_DEP_4)
	v_add_f64_e32 v[14:15], v[14:15], v[118:119]
	v_add_f64_e32 v[18:19], v[18:19], v[108:109]
	s_delay_alu instid0(VALU_DEP_4) | instskip(SKIP_3) | instid1(VALU_DEP_3)
	v_add_f64_e32 v[12:13], v[12:13], v[94:95]
	v_fma_f64 v[94:95], v[169:170], s[34:35], v[92:93]
	v_add_f64_e32 v[16:17], v[16:17], v[128:129]
	v_fma_f64 v[92:93], v[169:170], s[34:35], -v[92:93]
	v_add_f64_e32 v[12:13], v[94:95], v[12:13]
	v_mul_f64_e32 v[94:95], s[48:49], v[165:166]
	s_delay_alu instid0(VALU_DEP_3) | instskip(NEXT) | instid1(VALU_DEP_2)
	v_add_f64_e32 v[16:17], v[92:93], v[16:17]
	v_fma_f64 v[98:99], v[163:164], s[34:35], -v[94:95]
	v_fma_f64 v[92:93], v[163:164], s[34:35], v[94:95]
	v_fma_f64 v[94:95], v[205:206], s[2:3], v[225:226]
	s_delay_alu instid0(VALU_DEP_3) | instskip(SKIP_1) | instid1(VALU_DEP_4)
	v_add_f64_e32 v[14:15], v[98:99], v[14:15]
	v_mul_f64_e32 v[98:99], s[50:51], v[183:184]
	v_add_f64_e32 v[18:19], v[92:93], v[18:19]
	s_delay_alu instid0(VALU_DEP_2) | instskip(SKIP_2) | instid1(VALU_DEP_3)
	v_fma_f64 v[100:101], v[177:178], s[42:43], v[98:99]
	v_fma_f64 v[92:93], v[177:178], s[42:43], -v[98:99]
	v_mul_f64_e32 v[98:99], s[40:41], v[167:168]
	v_add_f64_e32 v[12:13], v[100:101], v[12:13]
	v_mul_f64_e32 v[100:101], s[50:51], v[173:174]
	s_delay_alu instid0(VALU_DEP_4) | instskip(NEXT) | instid1(VALU_DEP_2)
	v_add_f64_e32 v[16:17], v[92:93], v[16:17]
	v_fma_f64 v[102:103], v[171:172], s[42:43], -v[100:101]
	v_fma_f64 v[92:93], v[171:172], s[42:43], v[100:101]
	v_mul_f64_e32 v[100:101], s[16:17], v[175:176]
	s_delay_alu instid0(VALU_DEP_3) | instskip(SKIP_1) | instid1(VALU_DEP_4)
	v_add_f64_e32 v[14:15], v[102:103], v[14:15]
	v_mul_f64_e32 v[102:103], s[40:41], v[193:194]
	v_add_f64_e32 v[18:19], v[92:93], v[18:19]
	s_delay_alu instid0(VALU_DEP_2) | instskip(SKIP_3) | instid1(VALU_DEP_4)
	v_fma_f64 v[104:105], v[185:186], s[36:37], v[102:103]
	v_fma_f64 v[92:93], v[185:186], s[36:37], -v[102:103]
	v_fma_f64 v[102:103], v[169:170], s[14:15], v[100:101]
	v_fma_f64 v[100:101], v[169:170], s[14:15], -v[100:101]
	v_add_f64_e32 v[12:13], v[104:105], v[12:13]
	v_mul_f64_e32 v[104:105], s[40:41], v[181:182]
	v_add_f64_e32 v[16:17], v[92:93], v[16:17]
	s_delay_alu instid0(VALU_DEP_2) | instskip(SKIP_1) | instid1(VALU_DEP_2)
	v_fma_f64 v[106:107], v[179:180], s[36:37], -v[104:105]
	v_fma_f64 v[92:93], v[179:180], s[36:37], v[104:105]
	v_add_f64_e32 v[14:15], v[106:107], v[14:15]
	v_mul_f64_e32 v[106:107], s[52:53], v[209:210]
	s_delay_alu instid0(VALU_DEP_3) | instskip(NEXT) | instid1(VALU_DEP_2)
	v_add_f64_e32 v[18:19], v[92:93], v[18:19]
	v_fma_f64 v[118:119], v[197:198], s[26:27], v[106:107]
	v_fma_f64 v[92:93], v[197:198], s[26:27], -v[106:107]
	s_delay_alu instid0(VALU_DEP_2) | instskip(SKIP_1) | instid1(VALU_DEP_3)
	v_add_f64_e32 v[12:13], v[118:119], v[12:13]
	v_mul_f64_e32 v[118:119], s[52:53], v[191:192]
	v_add_f64_e32 v[16:17], v[92:93], v[16:17]
	s_delay_alu instid0(VALU_DEP_2) | instskip(SKIP_1) | instid1(VALU_DEP_2)
	v_fma_f64 v[201:202], v[187:188], s[26:27], -v[118:119]
	v_fma_f64 v[92:93], v[187:188], s[26:27], v[118:119]
	v_add_f64_e32 v[14:15], v[201:202], v[14:15]
	v_mul_f64_e32 v[201:202], s[28:29], v[217:218]
	s_delay_alu instid0(VALU_DEP_3) | instskip(NEXT) | instid1(VALU_DEP_2)
	v_add_f64_e32 v[18:19], v[92:93], v[18:19]
	v_fma_f64 v[213:214], v[203:204], s[18:19], v[201:202]
	v_fma_f64 v[92:93], v[203:204], s[18:19], -v[201:202]
	s_delay_alu instid0(VALU_DEP_2) | instskip(SKIP_1) | instid1(VALU_DEP_3)
	v_add_f64_e32 v[12:13], v[213:214], v[12:13]
	v_mul_f64_e32 v[213:214], s[28:29], v[207:208]
	v_add_f64_e32 v[16:17], v[92:93], v[16:17]
	s_delay_alu instid0(VALU_DEP_2) | instskip(SKIP_1) | instid1(VALU_DEP_2)
	v_fma_f64 v[92:93], v[199:200], s[18:19], v[213:214]
	v_fma_f64 v[221:222], v[199:200], s[18:19], -v[213:214]
	v_add_f64_e32 v[92:93], v[92:93], v[18:19]
	v_fma_f64 v[18:19], v[211:212], s[2:3], -v[223:224]
	s_delay_alu instid0(VALU_DEP_3) | instskip(SKIP_2) | instid1(VALU_DEP_4)
	v_add_f64_e32 v[221:222], v[221:222], v[14:15]
	v_fma_f64 v[14:15], v[211:212], s[2:3], v[223:224]
	v_mul_f64_e32 v[223:224], s[48:49], v[219:220]
	v_add_f64_e32 v[18:19], v[18:19], v[16:17]
	v_add_f64_e32 v[16:17], v[94:95], v[92:93]
	v_fma_f64 v[92:93], v[161:162], s[36:37], v[98:99]
	v_fma_f64 v[98:99], v[161:162], s[36:37], -v[98:99]
	v_add_f64_e32 v[14:15], v[14:15], v[12:13]
	v_fma_f64 v[12:13], v[205:206], s[2:3], -v[225:226]
	v_mul_f64_e32 v[225:226], s[48:49], v[215:216]
	v_add_f64_e32 v[92:93], v[92:93], v[96:97]
	v_mul_f64_e32 v[96:97], s[40:41], v[159:160]
	v_add_f64_e32 v[98:99], v[98:99], v[130:131]
	v_add_f64_e32 v[12:13], v[12:13], v[221:222]
	s_delay_alu instid0(VALU_DEP_4) | instskip(NEXT) | instid1(VALU_DEP_4)
	v_add_f64_e32 v[92:93], v[102:103], v[92:93]
	v_fma_f64 v[94:95], v[157:158], s[36:37], -v[96:97]
	v_mul_f64_e32 v[102:103], s[16:17], v[165:166]
	v_fma_f64 v[96:97], v[157:158], s[36:37], v[96:97]
	v_add_f64_e32 v[98:99], v[100:101], v[98:99]
	s_delay_alu instid0(VALU_DEP_4) | instskip(NEXT) | instid1(VALU_DEP_4)
	v_add_f64_e32 v[94:95], v[94:95], v[120:121]
	v_fma_f64 v[104:105], v[163:164], s[14:15], -v[102:103]
	s_delay_alu instid0(VALU_DEP_4) | instskip(SKIP_2) | instid1(VALU_DEP_4)
	v_add_f64_e32 v[96:97], v[96:97], v[110:111]
	v_fma_f64 v[100:101], v[163:164], s[14:15], v[102:103]
	v_fma_f64 v[102:103], v[205:206], s[34:35], v[225:226]
	v_add_f64_e32 v[94:95], v[104:105], v[94:95]
	v_mul_f64_e32 v[104:105], s[22:23], v[183:184]
	s_delay_alu instid0(VALU_DEP_4) | instskip(NEXT) | instid1(VALU_DEP_2)
	v_add_f64_e32 v[96:97], v[100:101], v[96:97]
	v_fma_f64 v[106:107], v[177:178], s[18:19], v[104:105]
	v_fma_f64 v[100:101], v[177:178], s[18:19], -v[104:105]
	v_mul_f64_e32 v[104:105], s[10:11], v[167:168]
	s_delay_alu instid0(VALU_DEP_3) | instskip(SKIP_1) | instid1(VALU_DEP_4)
	v_add_f64_e32 v[92:93], v[106:107], v[92:93]
	v_mul_f64_e32 v[106:107], s[22:23], v[173:174]
	v_add_f64_e32 v[98:99], v[100:101], v[98:99]
	s_delay_alu instid0(VALU_DEP_2) | instskip(SKIP_2) | instid1(VALU_DEP_3)
	v_fma_f64 v[108:109], v[171:172], s[18:19], -v[106:107]
	v_fma_f64 v[100:101], v[171:172], s[18:19], v[106:107]
	v_mul_f64_e32 v[106:107], s[10:11], v[159:160]
	v_add_f64_e32 v[94:95], v[108:109], v[94:95]
	v_mul_f64_e32 v[108:109], s[50:51], v[193:194]
	s_delay_alu instid0(VALU_DEP_4) | instskip(NEXT) | instid1(VALU_DEP_2)
	v_add_f64_e32 v[96:97], v[100:101], v[96:97]
	v_fma_f64 v[118:119], v[185:186], s[42:43], v[108:109]
	v_fma_f64 v[100:101], v[185:186], s[42:43], -v[108:109]
	v_mul_f64_e32 v[108:109], s[56:57], v[175:176]
	s_delay_alu instid0(VALU_DEP_3) | instskip(SKIP_1) | instid1(VALU_DEP_4)
	v_add_f64_e32 v[92:93], v[118:119], v[92:93]
	v_mul_f64_e32 v[118:119], s[50:51], v[181:182]
	v_add_f64_e32 v[98:99], v[100:101], v[98:99]
	s_delay_alu instid0(VALU_DEP_4) | instskip(SKIP_1) | instid1(VALU_DEP_4)
	v_fma_f64 v[110:111], v[169:170], s[36:37], v[108:109]
	v_fma_f64 v[108:109], v[169:170], s[36:37], -v[108:109]
	v_fma_f64 v[120:121], v[179:180], s[42:43], -v[118:119]
	v_fma_f64 v[100:101], v[179:180], s[42:43], v[118:119]
	s_delay_alu instid0(VALU_DEP_2) | instskip(SKIP_1) | instid1(VALU_DEP_3)
	v_add_f64_e32 v[94:95], v[120:121], v[94:95]
	v_mul_f64_e32 v[120:121], s[24:25], v[209:210]
	v_add_f64_e32 v[96:97], v[100:101], v[96:97]
	s_delay_alu instid0(VALU_DEP_2) | instskip(SKIP_1) | instid1(VALU_DEP_2)
	v_fma_f64 v[128:129], v[197:198], s[20:21], v[120:121]
	v_fma_f64 v[100:101], v[197:198], s[20:21], -v[120:121]
	v_add_f64_e32 v[92:93], v[128:129], v[92:93]
	v_mul_f64_e32 v[128:129], s[24:25], v[191:192]
	s_delay_alu instid0(VALU_DEP_3) | instskip(NEXT) | instid1(VALU_DEP_2)
	v_add_f64_e32 v[98:99], v[100:101], v[98:99]
	v_fma_f64 v[201:202], v[187:188], s[20:21], -v[128:129]
	v_fma_f64 v[100:101], v[187:188], s[20:21], v[128:129]
	s_delay_alu instid0(VALU_DEP_2) | instskip(SKIP_1) | instid1(VALU_DEP_3)
	v_add_f64_e32 v[94:95], v[201:202], v[94:95]
	v_mul_f64_e32 v[201:202], s[58:59], v[217:218]
	v_add_f64_e32 v[96:97], v[100:101], v[96:97]
	s_delay_alu instid0(VALU_DEP_2) | instskip(SKIP_1) | instid1(VALU_DEP_2)
	v_fma_f64 v[213:214], v[203:204], s[2:3], v[201:202]
	v_fma_f64 v[100:101], v[203:204], s[2:3], -v[201:202]
	v_add_f64_e32 v[92:93], v[213:214], v[92:93]
	v_mul_f64_e32 v[213:214], s[58:59], v[207:208]
	s_delay_alu instid0(VALU_DEP_3) | instskip(NEXT) | instid1(VALU_DEP_2)
	v_add_f64_e32 v[98:99], v[100:101], v[98:99]
	v_fma_f64 v[100:101], v[199:200], s[2:3], v[213:214]
	v_fma_f64 v[221:222], v[199:200], s[2:3], -v[213:214]
	s_delay_alu instid0(VALU_DEP_2) | instskip(SKIP_1) | instid1(VALU_DEP_3)
	v_add_f64_e32 v[96:97], v[100:101], v[96:97]
	v_fma_f64 v[100:101], v[211:212], s[34:35], -v[223:224]
	v_add_f64_e32 v[221:222], v[221:222], v[94:95]
	v_fma_f64 v[94:95], v[211:212], s[34:35], v[223:224]
	v_mul_f64_e32 v[223:224], s[24:25], v[219:220]
	v_add_f64_e32 v[96:97], v[102:103], v[96:97]
	v_add_f64_e32 v[98:99], v[100:101], v[98:99]
	v_fma_f64 v[100:101], v[161:162], s[2:3], v[104:105]
	v_fma_f64 v[102:103], v[157:158], s[2:3], -v[106:107]
	v_fma_f64 v[104:105], v[161:162], s[2:3], -v[104:105]
	v_fma_f64 v[106:107], v[157:158], s[2:3], v[106:107]
	v_add_f64_e32 v[94:95], v[94:95], v[92:93]
	v_fma_f64 v[92:93], v[205:206], s[34:35], -v[225:226]
	v_mul_f64_e32 v[225:226], s[24:25], v[215:216]
	v_add_f64_e32 v[100:101], v[100:101], v[132:133]
	v_add_f64_e32 v[102:103], v[102:103], v[122:123]
	;; [unrolled: 1-line block ×4, first 2 shown]
	v_mul_f64_e32 v[112:113], s[30:31], v[167:168]
	v_add_f64_e32 v[92:93], v[92:93], v[221:222]
	v_add_f64_e32 v[100:101], v[110:111], v[100:101]
	v_mul_f64_e32 v[110:111], s[56:57], v[165:166]
	v_add_f64_e32 v[104:105], v[108:109], v[104:105]
	s_delay_alu instid0(VALU_DEP_2) | instskip(SKIP_2) | instid1(VALU_DEP_3)
	v_fma_f64 v[118:119], v[163:164], s[36:37], -v[110:111]
	v_fma_f64 v[108:109], v[163:164], s[36:37], v[110:111]
	v_fma_f64 v[110:111], v[205:206], s[20:21], v[225:226]
	v_add_f64_e32 v[102:103], v[118:119], v[102:103]
	v_mul_f64_e32 v[118:119], s[16:17], v[183:184]
	s_delay_alu instid0(VALU_DEP_4) | instskip(NEXT) | instid1(VALU_DEP_2)
	v_add_f64_e32 v[106:107], v[108:109], v[106:107]
	v_fma_f64 v[120:121], v[177:178], s[14:15], v[118:119]
	v_fma_f64 v[108:109], v[177:178], s[14:15], -v[118:119]
	v_mul_f64_e32 v[118:119], s[30:31], v[159:160]
	s_delay_alu instid0(VALU_DEP_3) | instskip(SKIP_1) | instid1(VALU_DEP_4)
	v_add_f64_e32 v[100:101], v[120:121], v[100:101]
	v_mul_f64_e32 v[120:121], s[16:17], v[173:174]
	v_add_f64_e32 v[104:105], v[108:109], v[104:105]
	s_delay_alu instid0(VALU_DEP_2) | instskip(SKIP_2) | instid1(VALU_DEP_3)
	v_fma_f64 v[122:123], v[171:172], s[14:15], -v[120:121]
	v_fma_f64 v[108:109], v[171:172], s[14:15], v[120:121]
	v_mul_f64_e32 v[120:121], s[10:11], v[175:176]
	v_add_f64_e32 v[102:103], v[122:123], v[102:103]
	v_mul_f64_e32 v[122:123], s[48:49], v[193:194]
	s_delay_alu instid0(VALU_DEP_4) | instskip(NEXT) | instid1(VALU_DEP_2)
	v_add_f64_e32 v[106:107], v[108:109], v[106:107]
	v_fma_f64 v[128:129], v[185:186], s[34:35], v[122:123]
	v_fma_f64 v[108:109], v[185:186], s[34:35], -v[122:123]
	v_fma_f64 v[122:123], v[169:170], s[2:3], v[120:121]
	s_delay_alu instid0(VALU_DEP_3) | instskip(SKIP_1) | instid1(VALU_DEP_4)
	v_add_f64_e32 v[100:101], v[128:129], v[100:101]
	v_mul_f64_e32 v[128:129], s[48:49], v[181:182]
	v_add_f64_e32 v[104:105], v[108:109], v[104:105]
	s_delay_alu instid0(VALU_DEP_2) | instskip(SKIP_1) | instid1(VALU_DEP_2)
	v_fma_f64 v[130:131], v[179:180], s[34:35], -v[128:129]
	v_fma_f64 v[108:109], v[179:180], s[34:35], v[128:129]
	v_add_f64_e32 v[102:103], v[130:131], v[102:103]
	v_mul_f64_e32 v[130:131], s[28:29], v[209:210]
	s_delay_alu instid0(VALU_DEP_3) | instskip(NEXT) | instid1(VALU_DEP_2)
	v_add_f64_e32 v[106:107], v[108:109], v[106:107]
	v_fma_f64 v[132:133], v[197:198], s[18:19], v[130:131]
	v_fma_f64 v[108:109], v[197:198], s[18:19], -v[130:131]
	s_delay_alu instid0(VALU_DEP_2) | instskip(SKIP_1) | instid1(VALU_DEP_3)
	v_add_f64_e32 v[100:101], v[132:133], v[100:101]
	v_mul_f64_e32 v[132:133], s[28:29], v[191:192]
	v_add_f64_e32 v[104:105], v[108:109], v[104:105]
	s_delay_alu instid0(VALU_DEP_2) | instskip(SKIP_1) | instid1(VALU_DEP_2)
	v_fma_f64 v[201:202], v[187:188], s[18:19], -v[132:133]
	v_fma_f64 v[108:109], v[187:188], s[18:19], v[132:133]
	v_add_f64_e32 v[102:103], v[201:202], v[102:103]
	v_mul_f64_e32 v[201:202], s[30:31], v[217:218]
	s_delay_alu instid0(VALU_DEP_3) | instskip(NEXT) | instid1(VALU_DEP_2)
	v_add_f64_e32 v[106:107], v[108:109], v[106:107]
	v_fma_f64 v[213:214], v[203:204], s[26:27], v[201:202]
	v_fma_f64 v[108:109], v[203:204], s[26:27], -v[201:202]
	s_delay_alu instid0(VALU_DEP_2) | instskip(SKIP_1) | instid1(VALU_DEP_3)
	v_add_f64_e32 v[100:101], v[213:214], v[100:101]
	v_mul_f64_e32 v[213:214], s[30:31], v[207:208]
	v_add_f64_e32 v[104:105], v[108:109], v[104:105]
	s_delay_alu instid0(VALU_DEP_2) | instskip(SKIP_1) | instid1(VALU_DEP_2)
	v_fma_f64 v[108:109], v[199:200], s[26:27], v[213:214]
	v_fma_f64 v[221:222], v[199:200], s[26:27], -v[213:214]
	v_add_f64_e32 v[108:109], v[108:109], v[106:107]
	v_fma_f64 v[106:107], v[211:212], s[20:21], -v[223:224]
	s_delay_alu instid0(VALU_DEP_3) | instskip(SKIP_2) | instid1(VALU_DEP_4)
	v_add_f64_e32 v[221:222], v[221:222], v[102:103]
	v_fma_f64 v[102:103], v[211:212], s[20:21], v[223:224]
	v_mul_f64_e32 v[223:224], s[22:23], v[219:220]
	v_add_f64_e32 v[106:107], v[106:107], v[104:105]
	v_add_f64_e32 v[104:105], v[110:111], v[108:109]
	v_fma_f64 v[108:109], v[161:162], s[26:27], v[112:113]
	v_fma_f64 v[110:111], v[157:158], s[26:27], -v[118:119]
	v_fma_f64 v[112:113], v[161:162], s[26:27], -v[112:113]
	v_fma_f64 v[118:119], v[157:158], s[26:27], v[118:119]
	v_add_f64_e32 v[102:103], v[102:103], v[100:101]
	v_fma_f64 v[100:101], v[205:206], s[20:21], -v[225:226]
	v_mul_f64_e32 v[225:226], s[22:23], v[215:216]
	v_add_f64_e32 v[108:109], v[108:109], v[136:137]
	v_add_f64_e32 v[110:111], v[110:111], v[124:125]
	;; [unrolled: 1-line block ×4, first 2 shown]
	v_fma_f64 v[118:119], v[169:170], s[2:3], -v[120:121]
	v_add_f64_e32 v[100:101], v[100:101], v[221:222]
	v_fma_f64 v[120:121], v[205:206], s[18:19], v[225:226]
	v_add_f64_e32 v[108:109], v[122:123], v[108:109]
	v_mul_f64_e32 v[122:123], s[10:11], v[165:166]
	v_add_f64_e32 v[112:113], v[118:119], v[112:113]
	s_delay_alu instid0(VALU_DEP_2) | instskip(SKIP_2) | instid1(VALU_DEP_3)
	v_fma_f64 v[124:125], v[163:164], s[2:3], -v[122:123]
	v_fma_f64 v[118:119], v[163:164], s[2:3], v[122:123]
	v_mul_f64_e32 v[122:123], s[38:39], v[159:160]
	v_add_f64_e32 v[110:111], v[124:125], v[110:111]
	v_mul_f64_e32 v[124:125], s[40:41], v[183:184]
	s_delay_alu instid0(VALU_DEP_4) | instskip(NEXT) | instid1(VALU_DEP_2)
	v_add_f64_e32 v[114:115], v[118:119], v[114:115]
	v_fma_f64 v[128:129], v[177:178], s[36:37], v[124:125]
	v_fma_f64 v[118:119], v[177:178], s[36:37], -v[124:125]
	v_fma_f64 v[124:125], v[157:158], s[34:35], v[122:123]
	v_fma_f64 v[122:123], v[157:158], s[34:35], -v[122:123]
	s_delay_alu instid0(VALU_DEP_4)
	v_add_f64_e32 v[108:109], v[128:129], v[108:109]
	v_mul_f64_e32 v[128:129], s[40:41], v[173:174]
	v_add_f64_e32 v[112:113], v[118:119], v[112:113]
	v_add_f64_e32 v[116:117], v[124:125], v[116:117]
	v_mul_f64_e32 v[124:125], s[50:51], v[175:176]
	v_add_f64_e32 v[122:123], v[122:123], v[126:127]
	v_mul_f64_e32 v[175:176], s[40:41], v[215:216]
	v_fma_f64 v[130:131], v[171:172], s[36:37], -v[128:129]
	v_fma_f64 v[118:119], v[171:172], s[36:37], v[128:129]
	v_fma_f64 v[128:129], v[169:170], s[42:43], -v[124:125]
	v_fma_f64 v[124:125], v[169:170], s[42:43], v[124:125]
	s_delay_alu instid0(VALU_DEP_4) | instskip(SKIP_2) | instid1(VALU_DEP_2)
	v_add_f64_e32 v[110:111], v[130:131], v[110:111]
	v_mul_f64_e32 v[130:131], s[54:55], v[193:194]
	v_add_f64_e32 v[114:115], v[118:119], v[114:115]
	v_fma_f64 v[132:133], v[185:186], s[20:21], v[130:131]
	v_fma_f64 v[118:119], v[185:186], s[20:21], -v[130:131]
	s_delay_alu instid0(VALU_DEP_2) | instskip(SKIP_1) | instid1(VALU_DEP_3)
	v_add_f64_e32 v[108:109], v[132:133], v[108:109]
	v_mul_f64_e32 v[132:133], s[54:55], v[181:182]
	v_add_f64_e32 v[112:113], v[118:119], v[112:113]
	s_delay_alu instid0(VALU_DEP_2) | instskip(SKIP_1) | instid1(VALU_DEP_2)
	v_fma_f64 v[134:135], v[179:180], s[20:21], -v[132:133]
	v_fma_f64 v[118:119], v[179:180], s[20:21], v[132:133]
	v_add_f64_e32 v[110:111], v[134:135], v[110:111]
	v_mul_f64_e32 v[134:135], s[16:17], v[209:210]
	s_delay_alu instid0(VALU_DEP_3) | instskip(NEXT) | instid1(VALU_DEP_2)
	v_add_f64_e32 v[114:115], v[118:119], v[114:115]
	v_fma_f64 v[136:137], v[197:198], s[14:15], v[134:135]
	v_fma_f64 v[118:119], v[197:198], s[14:15], -v[134:135]
	s_delay_alu instid0(VALU_DEP_2) | instskip(SKIP_1) | instid1(VALU_DEP_3)
	v_add_f64_e32 v[108:109], v[136:137], v[108:109]
	v_mul_f64_e32 v[136:137], s[16:17], v[191:192]
	v_add_f64_e32 v[112:113], v[118:119], v[112:113]
	s_delay_alu instid0(VALU_DEP_2) | instskip(SKIP_1) | instid1(VALU_DEP_2)
	v_fma_f64 v[201:202], v[187:188], s[14:15], -v[136:137]
	v_fma_f64 v[118:119], v[187:188], s[14:15], v[136:137]
	v_add_f64_e32 v[110:111], v[201:202], v[110:111]
	v_mul_f64_e32 v[201:202], s[44:45], v[217:218]
	s_delay_alu instid0(VALU_DEP_3) | instskip(NEXT) | instid1(VALU_DEP_2)
	v_add_f64_e32 v[114:115], v[118:119], v[114:115]
	v_fma_f64 v[213:214], v[203:204], s[42:43], v[201:202]
	v_fma_f64 v[118:119], v[203:204], s[42:43], -v[201:202]
	s_delay_alu instid0(VALU_DEP_2) | instskip(SKIP_1) | instid1(VALU_DEP_3)
	v_add_f64_e32 v[108:109], v[213:214], v[108:109]
	v_mul_f64_e32 v[213:214], s[44:45], v[207:208]
	v_add_f64_e32 v[112:113], v[118:119], v[112:113]
	s_delay_alu instid0(VALU_DEP_2) | instskip(SKIP_1) | instid1(VALU_DEP_2)
	v_fma_f64 v[118:119], v[199:200], s[42:43], v[213:214]
	v_fma_f64 v[221:222], v[199:200], s[42:43], -v[213:214]
	v_add_f64_e32 v[118:119], v[118:119], v[114:115]
	v_fma_f64 v[114:115], v[211:212], s[18:19], -v[223:224]
	s_delay_alu instid0(VALU_DEP_3) | instskip(SKIP_1) | instid1(VALU_DEP_3)
	v_add_f64_e32 v[221:222], v[221:222], v[110:111]
	v_fma_f64 v[110:111], v[211:212], s[18:19], v[223:224]
	v_add_f64_e32 v[114:115], v[114:115], v[112:113]
	v_add_f64_e32 v[112:113], v[120:121], v[118:119]
	v_mul_f64_e32 v[120:121], s[38:39], v[167:168]
	s_delay_alu instid0(VALU_DEP_4) | instskip(SKIP_1) | instid1(VALU_DEP_3)
	v_add_f64_e32 v[110:111], v[110:111], v[108:109]
	v_fma_f64 v[108:109], v[205:206], s[18:19], -v[225:226]
	v_fma_f64 v[118:119], v[161:162], s[34:35], -v[120:121]
	v_fma_f64 v[120:121], v[161:162], s[34:35], v[120:121]
	s_delay_alu instid0(VALU_DEP_3) | instskip(NEXT) | instid1(VALU_DEP_3)
	v_add_f64_e32 v[108:109], v[108:109], v[221:222]
	v_add_f64_e32 v[118:119], v[118:119], v[195:196]
	s_delay_alu instid0(VALU_DEP_3) | instskip(NEXT) | instid1(VALU_DEP_2)
	v_add_f64_e32 v[120:121], v[120:121], v[189:190]
	v_add_f64_e32 v[118:119], v[128:129], v[118:119]
	v_mul_f64_e32 v[128:129], s[50:51], v[165:166]
	s_delay_alu instid0(VALU_DEP_3) | instskip(NEXT) | instid1(VALU_DEP_2)
	v_add_f64_e32 v[120:121], v[124:125], v[120:121]
	v_fma_f64 v[130:131], v[163:164], s[42:43], v[128:129]
	v_fma_f64 v[128:129], v[163:164], s[42:43], -v[128:129]
	s_delay_alu instid0(VALU_DEP_2) | instskip(SKIP_1) | instid1(VALU_DEP_3)
	v_add_f64_e32 v[116:117], v[130:131], v[116:117]
	v_mul_f64_e32 v[130:131], s[30:31], v[183:184]
	v_add_f64_e32 v[122:123], v[128:129], v[122:123]
	s_delay_alu instid0(VALU_DEP_2) | instskip(SKIP_1) | instid1(VALU_DEP_2)
	v_fma_f64 v[132:133], v[177:178], s[26:27], -v[130:131]
	v_fma_f64 v[126:127], v[177:178], s[26:27], v[130:131]
	v_add_f64_e32 v[118:119], v[132:133], v[118:119]
	v_mul_f64_e32 v[132:133], s[30:31], v[173:174]
	s_delay_alu instid0(VALU_DEP_3) | instskip(NEXT) | instid1(VALU_DEP_2)
	v_add_f64_e32 v[120:121], v[126:127], v[120:121]
	v_fma_f64 v[134:135], v[171:172], s[26:27], v[132:133]
	v_fma_f64 v[130:131], v[171:172], s[26:27], -v[132:133]
	s_delay_alu instid0(VALU_DEP_2) | instskip(SKIP_1) | instid1(VALU_DEP_3)
	v_add_f64_e32 v[116:117], v[134:135], v[116:117]
	v_mul_f64_e32 v[134:135], s[46:47], v[193:194]
	v_add_f64_e32 v[122:123], v[130:131], v[122:123]
	s_delay_alu instid0(VALU_DEP_2) | instskip(SKIP_1) | instid1(VALU_DEP_2)
	v_fma_f64 v[136:137], v[185:186], s[14:15], -v[134:135]
	v_fma_f64 v[124:125], v[185:186], s[14:15], v[134:135]
	;; [unrolled: 13-line block ×3, first 2 shown]
	v_add_f64_e32 v[118:119], v[159:160], v[118:119]
	v_mul_f64_e32 v[159:160], s[10:11], v[191:192]
	s_delay_alu instid0(VALU_DEP_3) | instskip(NEXT) | instid1(VALU_DEP_2)
	v_add_f64_e32 v[120:121], v[126:127], v[120:121]
	v_fma_f64 v[165:166], v[187:188], s[2:3], v[159:160]
	v_fma_f64 v[130:131], v[187:188], s[2:3], -v[159:160]
	s_delay_alu instid0(VALU_DEP_2) | instskip(SKIP_1) | instid1(VALU_DEP_3)
	v_add_f64_e32 v[116:117], v[165:166], v[116:117]
	v_mul_f64_e32 v[165:166], s[24:25], v[217:218]
	v_add_f64_e32 v[122:123], v[130:131], v[122:123]
	v_fma_f64 v[130:131], v[205:206], s[36:37], -v[175:176]
	s_delay_alu instid0(VALU_DEP_3) | instskip(SKIP_1) | instid1(VALU_DEP_2)
	v_fma_f64 v[167:168], v[203:204], s[20:21], -v[165:166]
	v_fma_f64 v[124:125], v[203:204], s[20:21], v[165:166]
	v_add_f64_e32 v[118:119], v[167:168], v[118:119]
	v_mul_f64_e32 v[167:168], s[24:25], v[207:208]
	s_delay_alu instid0(VALU_DEP_3) | instskip(NEXT) | instid1(VALU_DEP_2)
	v_add_f64_e32 v[120:121], v[124:125], v[120:121]
	v_fma_f64 v[173:174], v[199:200], s[20:21], v[167:168]
	v_fma_f64 v[128:129], v[199:200], s[20:21], -v[167:168]
	s_delay_alu instid0(VALU_DEP_2) | instskip(SKIP_1) | instid1(VALU_DEP_3)
	v_add_f64_e32 v[116:117], v[173:174], v[116:117]
	v_mul_f64_e32 v[173:174], s[40:41], v[219:220]
	v_add_f64_e32 v[124:125], v[128:129], v[122:123]
	s_delay_alu instid0(VALU_DEP_2) | instskip(SKIP_1) | instid1(VALU_DEP_2)
	v_fma_f64 v[126:127], v[211:212], s[36:37], v[173:174]
	v_fma_f64 v[181:182], v[211:212], s[36:37], -v[173:174]
	v_add_f64_e32 v[122:123], v[126:127], v[120:121]
	s_delay_alu instid0(VALU_DEP_4)
	v_add_f64_e32 v[120:121], v[130:131], v[124:125]
	s_clause 0x1
	scratch_load_b32 v124, off, off offset:32 th:TH_LOAD_LU
	scratch_load_b32 v125, off, off
	v_add_f64_e32 v[118:119], v[181:182], v[118:119]
	v_fma_f64 v[181:182], v[205:206], s[36:37], v[175:176]
	s_delay_alu instid0(VALU_DEP_1) | instskip(SKIP_3) | instid1(VALU_DEP_1)
	v_add_f64_e32 v[116:117], v[181:182], v[116:117]
	s_wait_loadcnt 0x1
	v_and_b32_e32 v124, 0xffff, v124
	s_wait_loadcnt 0x0
	v_lshl_add_u32 v124, v124, 4, v125
	ds_store_b128 v124, v[112:115] offset:32
	ds_store_b128 v124, v[104:107] offset:48
	;; [unrolled: 1-line block ×15, first 2 shown]
	ds_store_b128 v124, v[0:3]
	ds_store_b128 v124, v[120:123] offset:256
.LBB0_17:
	s_wait_alu 0xfffe
	s_or_b32 exec_lo, exec_lo, s1
	global_wb scope:SCOPE_SE
	s_wait_dscnt 0x0
	s_barrier_signal -1
	s_barrier_wait -1
	global_inv scope:SCOPE_SE
	ds_load_b128 v[0:3], v252
	ds_load_b128 v[4:7], v252 offset:1088
	ds_load_b128 v[92:95], v252 offset:2720
	;; [unrolled: 1-line block ×7, first 2 shown]
	s_and_saveexec_b32 s1, s0
	s_cbranch_execz .LBB0_19
; %bb.18:
	ds_load_b128 v[148:151], v252 offset:2176
	ds_load_b128 v[152:155], v252 offset:4896
	;; [unrolled: 1-line block ×4, first 2 shown]
.LBB0_19:
	s_wait_alu 0xfffe
	s_or_b32 exec_lo, exec_lo, s1
	s_wait_dscnt 0x5
	v_mul_f64_e32 v[104:105], v[66:67], v[94:95]
	v_mul_f64_e32 v[66:67], v[66:67], v[92:93]
	s_wait_dscnt 0x3
	v_mul_f64_e32 v[106:107], v[54:55], v[98:99]
	v_mul_f64_e32 v[54:55], v[54:55], v[96:97]
	;; [unrolled: 3-line block ×3, first 2 shown]
	v_mul_f64_e32 v[110:111], v[46:47], v[10:11]
	v_mul_f64_e32 v[46:47], v[46:47], v[8:9]
	;; [unrolled: 1-line block ×4, first 2 shown]
	s_wait_dscnt 0x0
	v_mul_f64_e32 v[114:115], v[38:39], v[18:19]
	v_mul_f64_e32 v[38:39], v[38:39], v[16:17]
	global_wb scope:SCOPE_SE
	s_barrier_signal -1
	s_barrier_wait -1
	global_inv scope:SCOPE_SE
	v_fma_f64 v[92:93], v[64:65], v[92:93], v[104:105]
	v_fma_f64 v[64:65], v[64:65], v[94:95], -v[66:67]
	v_fma_f64 v[66:67], v[52:53], v[96:97], v[106:107]
	v_fma_f64 v[52:53], v[52:53], v[98:99], -v[54:55]
	;; [unrolled: 2-line block ×6, first 2 shown]
	v_add_f64_e64 v[36:37], v[0:1], -v[66:67]
	v_add_f64_e64 v[38:39], v[2:3], -v[52:53]
	;; [unrolled: 1-line block ×8, first 2 shown]
	v_fma_f64 v[46:47], v[0:1], 2.0, -v[36:37]
	v_fma_f64 v[50:51], v[2:3], 2.0, -v[38:39]
	;; [unrolled: 1-line block ×4, first 2 shown]
	v_add_f64_e32 v[0:1], v[36:37], v[42:43]
	v_add_f64_e64 v[2:3], v[38:39], -v[40:41]
	v_fma_f64 v[52:53], v[4:5], 2.0, -v[44:45]
	v_fma_f64 v[54:55], v[6:7], 2.0, -v[48:49]
	;; [unrolled: 1-line block ×4, first 2 shown]
	v_add_f64_e32 v[4:5], v[44:45], v[12:13]
	v_add_f64_e64 v[8:9], v[46:47], -v[14:15]
	v_add_f64_e64 v[10:11], v[50:51], -v[18:19]
	v_fma_f64 v[18:19], v[38:39], 2.0, -v[2:3]
	v_add_f64_e64 v[12:13], v[52:53], -v[6:7]
	v_add_f64_e64 v[14:15], v[54:55], -v[64:65]
	;; [unrolled: 1-line block ×3, first 2 shown]
	v_fma_f64 v[16:17], v[36:37], 2.0, -v[0:1]
	v_fma_f64 v[36:37], v[44:45], 2.0, -v[4:5]
	;; [unrolled: 1-line block ×7, first 2 shown]
	ds_store_b128 v254, v[8:11] offset:544
	ds_store_b128 v254, v[0:3] offset:816
	ds_store_b128 v254, v[40:43]
	ds_store_b128 v254, v[16:19] offset:272
	ds_store_b128 v253, v[44:47]
	ds_store_b128 v253, v[36:39] offset:272
	ds_store_b128 v253, v[12:15] offset:544
	;; [unrolled: 1-line block ×3, first 2 shown]
	s_and_saveexec_b32 s1, s0
	s_cbranch_execz .LBB0_21
; %bb.20:
	v_mul_f64_e32 v[0:1], v[26:27], v[144:145]
	v_mul_f64_e32 v[2:3], v[30:31], v[154:155]
	v_mul_f64_e32 v[4:5], v[30:31], v[152:153]
	v_mul_f64_e32 v[6:7], v[22:23], v[140:141]
	v_mul_f64_e32 v[8:9], v[26:27], v[146:147]
	v_mul_f64_e32 v[10:11], v[22:23], v[142:143]
	v_fma_f64 v[0:1], v[24:25], v[146:147], -v[0:1]
	v_fma_f64 v[2:3], v[28:29], v[152:153], v[2:3]
	v_fma_f64 v[4:5], v[28:29], v[154:155], -v[4:5]
	v_fma_f64 v[6:7], v[20:21], v[142:143], -v[6:7]
	v_fma_f64 v[8:9], v[24:25], v[144:145], v[8:9]
	v_fma_f64 v[10:11], v[20:21], v[140:141], v[10:11]
	v_add_f64_e64 v[12:13], v[150:151], -v[0:1]
	s_delay_alu instid0(VALU_DEP_4) | instskip(NEXT) | instid1(VALU_DEP_4)
	v_add_f64_e64 v[0:1], v[4:5], -v[6:7]
	v_add_f64_e64 v[8:9], v[148:149], -v[8:9]
	s_delay_alu instid0(VALU_DEP_4) | instskip(NEXT) | instid1(VALU_DEP_4)
	v_add_f64_e64 v[6:7], v[2:3], -v[10:11]
	v_fma_f64 v[14:15], v[150:151], 2.0, -v[12:13]
	s_delay_alu instid0(VALU_DEP_4) | instskip(NEXT) | instid1(VALU_DEP_4)
	v_fma_f64 v[4:5], v[4:5], 2.0, -v[0:1]
	v_fma_f64 v[16:17], v[148:149], 2.0, -v[8:9]
	s_delay_alu instid0(VALU_DEP_4) | instskip(SKIP_3) | instid1(VALU_DEP_4)
	v_fma_f64 v[10:11], v[2:3], 2.0, -v[6:7]
	v_add_f64_e64 v[2:3], v[12:13], -v[6:7]
	v_add_f64_e32 v[0:1], v[8:9], v[0:1]
	v_add_f64_e64 v[6:7], v[14:15], -v[4:5]
	v_add_f64_e64 v[4:5], v[16:17], -v[10:11]
	s_delay_alu instid0(VALU_DEP_4) | instskip(NEXT) | instid1(VALU_DEP_4)
	v_fma_f64 v[10:11], v[12:13], 2.0, -v[2:3]
	v_fma_f64 v[8:9], v[8:9], 2.0, -v[0:1]
	s_delay_alu instid0(VALU_DEP_4) | instskip(NEXT) | instid1(VALU_DEP_4)
	v_fma_f64 v[14:15], v[14:15], 2.0, -v[6:7]
	v_fma_f64 v[12:13], v[16:17], 2.0, -v[4:5]
	s_clause 0x1
	scratch_load_b32 v16, off, off offset:16 th:TH_LOAD_LU
	scratch_load_b32 v17, off, off offset:8 th:TH_LOAD_LU
	s_wait_loadcnt 0x1
	v_mul_u32_u24_e32 v16, 0x44, v16
	s_wait_loadcnt 0x0
	s_delay_alu instid0(VALU_DEP_1)
	v_add_nc_u32_e32 v16, v16, v17
	scratch_load_b32 v17, off, off th:TH_LOAD_LU ; 4-byte Folded Reload
	s_wait_loadcnt 0x0
	v_lshl_add_u32 v16, v16, 4, v17
	ds_store_b128 v16, v[12:15]
	ds_store_b128 v16, v[8:11] offset:272
	ds_store_b128 v16, v[4:7] offset:544
	;; [unrolled: 1-line block ×3, first 2 shown]
.LBB0_21:
	s_wait_alu 0xfffe
	s_or_b32 exec_lo, exec_lo, s1
	global_wb scope:SCOPE_SE
	s_wait_dscnt 0x0
	s_barrier_signal -1
	s_barrier_wait -1
	global_inv scope:SCOPE_SE
	ds_load_b128 v[0:3], v252 offset:3264
	ds_load_b128 v[4:7], v252 offset:5440
	;; [unrolled: 1-line block ×6, first 2 shown]
	s_mov_b32 s10, 0x134454ff
	s_mov_b32 s11, 0xbfee6f0e
	s_mov_b32 s1, 0x3fee6f0e
	s_wait_alu 0xfffe
	s_mov_b32 s0, s10
	s_mov_b32 s16, 0x4755a5e
	;; [unrolled: 1-line block ×4, first 2 shown]
	s_wait_alu 0xfffe
	s_mov_b32 s2, s16
	s_mov_b32 s14, 0x372fe950
	;; [unrolled: 1-line block ×6, first 2 shown]
	s_wait_alu 0xfffe
	s_mov_b32 s20, s14
	s_mov_b32 s23, 0xbfe9e377
	s_wait_dscnt 0x5
	v_mul_f64_e32 v[24:25], v[78:79], v[0:1]
	s_wait_dscnt 0x4
	v_mul_f64_e32 v[26:27], v[86:87], v[4:5]
	;; [unrolled: 2-line block ×5, first 2 shown]
	v_mul_f64_e32 v[42:43], v[78:79], v[2:3]
	v_mul_f64_e32 v[44:45], v[86:87], v[6:7]
	;; [unrolled: 1-line block ×4, first 2 shown]
	s_wait_dscnt 0x0
	v_mul_f64_e32 v[52:53], v[74:75], v[20:21]
	v_mul_f64_e32 v[34:35], v[34:35], v[18:19]
	s_mov_b32 s22, s18
	v_fma_f64 v[50:51], v[76:77], v[2:3], -v[24:25]
	v_fma_f64 v[6:7], v[84:85], v[6:7], -v[26:27]
	;; [unrolled: 1-line block ×4, first 2 shown]
	ds_load_b128 v[24:27], v252 offset:4352
	ds_load_b128 v[28:31], v252 offset:6528
	;; [unrolled: 1-line block ×3, first 2 shown]
	v_mul_f64_e32 v[2:3], v[74:75], v[22:23]
	v_fma_f64 v[42:43], v[76:77], v[0:1], v[42:43]
	v_fma_f64 v[4:5], v[84:85], v[4:5], v[44:45]
	;; [unrolled: 1-line block ×4, first 2 shown]
	v_fma_f64 v[18:19], v[32:33], v[18:19], -v[40:41]
	v_fma_f64 v[22:23], v[72:73], v[22:23], -v[52:53]
	v_fma_f64 v[16:17], v[32:33], v[16:17], v[34:35]
	s_wait_dscnt 0x2
	v_mul_f64_e32 v[54:55], v[70:71], v[26:27]
	v_mul_f64_e32 v[64:65], v[70:71], v[24:25]
	s_wait_dscnt 0x1
	v_mul_f64_e32 v[66:67], v[62:63], v[30:31]
	s_wait_dscnt 0x0
	v_mul_f64_e32 v[70:71], v[58:59], v[38:39]
	v_mul_f64_e32 v[62:63], v[62:63], v[28:29]
	;; [unrolled: 1-line block ×3, first 2 shown]
	v_add_f64_e32 v[0:1], v[6:7], v[10:11]
	v_add_f64_e32 v[40:41], v[50:51], v[14:15]
	v_fma_f64 v[20:21], v[72:73], v[20:21], v[2:3]
	v_add_f64_e64 v[84:85], v[42:43], -v[4:5]
	v_add_f64_e32 v[32:33], v[4:5], v[8:9]
	v_add_f64_e32 v[34:35], v[42:43], v[12:13]
	v_add_f64_e64 v[44:45], v[42:43], -v[12:13]
	v_add_f64_e64 v[46:47], v[4:5], -v[8:9]
	;; [unrolled: 1-line block ×4, first 2 shown]
	v_fma_f64 v[24:25], v[68:69], v[24:25], v[54:55]
	v_fma_f64 v[26:27], v[68:69], v[26:27], -v[64:65]
	v_fma_f64 v[28:29], v[60:61], v[28:29], v[66:67]
	v_fma_f64 v[36:37], v[56:57], v[36:37], v[70:71]
	v_fma_f64 v[30:31], v[60:61], v[30:31], -v[62:63]
	v_fma_f64 v[38:39], v[56:57], v[38:39], -v[58:59]
	v_add_f64_e64 v[60:61], v[50:51], -v[14:15]
	v_add_f64_e64 v[62:63], v[50:51], -v[6:7]
	;; [unrolled: 1-line block ×6, first 2 shown]
	v_fma_f64 v[48:49], v[0:1], -0.5, v[18:19]
	v_fma_f64 v[40:41], v[40:41], -0.5, v[18:19]
	ds_load_b128 v[0:3], v252
	v_add_f64_e32 v[18:19], v[18:19], v[50:51]
	v_fma_f64 v[32:33], v[32:33], -0.5, v[16:17]
	v_fma_f64 v[34:35], v[34:35], -0.5, v[16:17]
	v_add_f64_e32 v[16:17], v[16:17], v[42:43]
	v_add_f64_e64 v[42:43], v[4:5], -v[42:43]
	v_add_f64_e64 v[90:91], v[22:23], -v[26:27]
	v_add_f64_e32 v[52:53], v[24:25], v[28:29]
	v_add_f64_e32 v[54:55], v[20:21], v[36:37]
	;; [unrolled: 1-line block ×4, first 2 shown]
	s_wait_dscnt 0x0
	v_add_f64_e32 v[76:77], v[0:1], v[20:21]
	v_add_f64_e32 v[82:83], v[2:3], v[22:23]
	v_add_f64_e64 v[78:79], v[22:23], -v[38:39]
	v_add_f64_e64 v[80:81], v[26:27], -v[30:31]
	v_add_f64_e64 v[22:23], v[26:27], -v[22:23]
	v_add_f64_e64 v[92:93], v[38:39], -v[30:31]
	v_add_f64_e64 v[94:95], v[30:31], -v[38:39]
	v_fma_f64 v[72:73], v[44:45], s[0:1], v[48:49]
	v_fma_f64 v[74:75], v[46:47], s[10:11], v[40:41]
	v_fma_f64 v[40:41], v[46:47], s[0:1], v[40:41]
	v_fma_f64 v[48:49], v[44:45], s[10:11], v[48:49]
	v_add_f64_e32 v[6:7], v[18:19], v[6:7]
	v_add_f64_e32 v[4:5], v[16:17], v[4:5]
	;; [unrolled: 1-line block ×4, first 2 shown]
	v_fma_f64 v[50:51], v[52:53], -0.5, v[0:1]
	v_add_f64_e64 v[52:53], v[20:21], -v[36:37]
	v_fma_f64 v[0:1], v[54:55], -0.5, v[0:1]
	v_add_f64_e64 v[54:55], v[24:25], -v[28:29]
	v_fma_f64 v[56:57], v[56:57], -0.5, v[2:3]
	v_fma_f64 v[2:3], v[58:59], -0.5, v[2:3]
	v_add_f64_e32 v[58:59], v[62:63], v[64:65]
	v_add_f64_e32 v[62:63], v[66:67], v[68:69]
	v_fma_f64 v[64:65], v[60:61], s[10:11], v[32:33]
	v_fma_f64 v[32:33], v[60:61], s[0:1], v[32:33]
	;; [unrolled: 1-line block ×4, first 2 shown]
	v_add_f64_e32 v[26:27], v[82:83], v[26:27]
	v_add_f64_e32 v[22:23], v[22:23], v[94:95]
	v_fma_f64 v[68:69], v[46:47], s[2:3], v[72:73]
	v_fma_f64 v[72:73], v[44:45], s[2:3], v[74:75]
	;; [unrolled: 1-line block ×4, first 2 shown]
	v_add_f64_e64 v[46:47], v[20:21], -v[24:25]
	v_add_f64_e64 v[20:21], v[24:25], -v[20:21]
	v_add_f64_e32 v[24:25], v[76:77], v[24:25]
	v_add_f64_e64 v[48:49], v[36:37], -v[28:29]
	v_add_f64_e64 v[74:75], v[28:29], -v[36:37]
	v_add_f64_e32 v[4:5], v[4:5], v[8:9]
	v_add_f64_e32 v[6:7], v[6:7], v[10:11]
	v_fma_f64 v[18:19], v[78:79], s[10:11], v[50:51]
	v_fma_f64 v[50:51], v[78:79], s[0:1], v[50:51]
	;; [unrolled: 1-line block ×12, first 2 shown]
	v_add_f64_e32 v[26:27], v[26:27], v[30:31]
	v_fma_f64 v[60:61], v[58:59], s[14:15], v[68:69]
	v_fma_f64 v[68:69], v[62:63], s[14:15], v[72:73]
	;; [unrolled: 1-line block ×4, first 2 shown]
	v_add_f64_e32 v[24:25], v[24:25], v[28:29]
	v_add_f64_e32 v[46:47], v[46:47], v[48:49]
	;; [unrolled: 1-line block ×6, first 2 shown]
	v_fma_f64 v[8:9], v[80:81], s[16:17], v[18:19]
	v_fma_f64 v[10:11], v[80:81], s[2:3], v[50:51]
	;; [unrolled: 1-line block ×12, first 2 shown]
	v_add_f64_e32 v[26:27], v[26:27], v[38:39]
	v_mul_f64_e32 v[42:43], s[16:17], v[60:61]
	v_mul_f64_e32 v[60:61], s[18:19], v[60:61]
	;; [unrolled: 1-line block ×6, first 2 shown]
	s_wait_alu 0xfffe
	v_mul_f64_e32 v[40:41], s[20:21], v[40:41]
	v_mul_f64_e32 v[44:45], s[22:23], v[44:45]
	v_add_f64_e32 v[24:25], v[24:25], v[36:37]
	v_fma_f64 v[36:37], v[46:47], s[14:15], v[8:9]
	v_fma_f64 v[38:39], v[46:47], s[14:15], v[10:11]
	;; [unrolled: 1-line block ×8, first 2 shown]
	v_add_f64_e32 v[2:3], v[26:27], v[6:7]
	v_add_f64_e64 v[6:7], v[26:27], -v[6:7]
	v_fma_f64 v[28:29], v[52:53], s[18:19], v[42:43]
	v_fma_f64 v[52:53], v[52:53], s[2:3], v[60:61]
	;; [unrolled: 1-line block ×8, first 2 shown]
	v_add_f64_e32 v[0:1], v[24:25], v[4:5]
	v_add_f64_e64 v[4:5], v[24:25], -v[4:5]
	v_add_f64_e32 v[8:9], v[36:37], v[28:29]
	v_add_f64_e32 v[10:11], v[66:67], v[52:53]
	;; [unrolled: 1-line block ×8, first 2 shown]
	v_add_f64_e64 v[24:25], v[36:37], -v[28:29]
	v_add_f64_e64 v[26:27], v[66:67], -v[52:53]
	;; [unrolled: 1-line block ×8, first 2 shown]
	ds_store_b128 v251, v[0:3]
	ds_store_b128 v251, v[8:11] offset:1088
	ds_store_b128 v251, v[12:15] offset:2176
	;; [unrolled: 1-line block ×9, first 2 shown]
	global_wb scope:SCOPE_SE
	s_wait_dscnt 0x0
	s_barrier_signal -1
	s_barrier_wait -1
	global_inv scope:SCOPE_SE
	s_and_b32 exec_lo, exec_lo, vcc_lo
	s_cbranch_execz .LBB0_23
; %bb.22:
	global_load_b128 v[0:3], v255, s[8:9]
	ds_load_b128 v[4:7], v251
	ds_load_b128 v[8:11], v251 offset:640
	scratch_load_b32 v15, off, off offset:4 th:TH_LOAD_LU ; 4-byte Folded Reload
	s_mov_b32 s0, 0x18181818
	s_mov_b32 s1, 0x3f581818
	s_mul_u64 s[2:3], s[4:5], 0x280
	s_wait_loadcnt_dscnt 0x101
	v_mul_f64_e32 v[12:13], v[6:7], v[2:3]
	v_mul_f64_e32 v[2:3], v[4:5], v[2:3]
	s_delay_alu instid0(VALU_DEP_2) | instskip(NEXT) | instid1(VALU_DEP_2)
	v_fma_f64 v[4:5], v[4:5], v[0:1], v[12:13]
	v_fma_f64 v[0:1], v[0:1], v[6:7], -v[2:3]
	v_mad_co_u64_u32 v[6:7], null, s6, v156, 0
	s_wait_loadcnt 0x0
	v_mad_co_u64_u32 v[12:13], null, s4, v15, 0
	s_wait_alu 0xfffe
	s_delay_alu instid0(VALU_DEP_4) | instskip(NEXT) | instid1(VALU_DEP_4)
	v_mul_f64_e32 v[2:3], s[0:1], v[4:5]
	v_mul_f64_e32 v[4:5], s[0:1], v[0:1]
	s_delay_alu instid0(VALU_DEP_3) | instskip(NEXT) | instid1(VALU_DEP_1)
	v_dual_mov_b32 v0, v7 :: v_dual_mov_b32 v1, v13
	v_mad_co_u64_u32 v[13:14], null, s7, v156, v[0:1]
	s_delay_alu instid0(VALU_DEP_1) | instskip(SKIP_1) | instid1(VALU_DEP_1)
	v_mov_b32_e32 v7, v13
	v_mad_co_u64_u32 v[0:1], null, s5, v15, v[1:2]
	v_mov_b32_e32 v13, v0
	s_delay_alu instid0(VALU_DEP_3) | instskip(NEXT) | instid1(VALU_DEP_2)
	v_lshlrev_b64_e32 v[0:1], 4, v[6:7]
	v_lshlrev_b64_e32 v[6:7], 4, v[12:13]
	s_delay_alu instid0(VALU_DEP_2) | instskip(NEXT) | instid1(VALU_DEP_3)
	v_add_co_u32 v0, vcc_lo, s12, v0
	v_add_co_ci_u32_e32 v1, vcc_lo, s13, v1, vcc_lo
	s_delay_alu instid0(VALU_DEP_2) | instskip(SKIP_1) | instid1(VALU_DEP_2)
	v_add_co_u32 v6, vcc_lo, v0, v6
	s_wait_alu 0xfffd
	v_add_co_ci_u32_e32 v7, vcc_lo, v1, v7, vcc_lo
	s_delay_alu instid0(VALU_DEP_2)
	v_add_co_u32 v14, vcc_lo, v6, s2
	global_store_b128 v[6:7], v[2:5], off
	global_load_b128 v[2:5], v255, s[8:9] offset:640
	s_wait_alu 0xfffd
	v_add_co_ci_u32_e32 v15, vcc_lo, s3, v7, vcc_lo
	s_wait_loadcnt_dscnt 0x0
	v_mul_f64_e32 v[12:13], v[10:11], v[4:5]
	v_mul_f64_e32 v[4:5], v[8:9], v[4:5]
	s_delay_alu instid0(VALU_DEP_2) | instskip(NEXT) | instid1(VALU_DEP_2)
	v_fma_f64 v[8:9], v[8:9], v[2:3], v[12:13]
	v_fma_f64 v[4:5], v[2:3], v[10:11], -v[4:5]
	s_delay_alu instid0(VALU_DEP_2) | instskip(NEXT) | instid1(VALU_DEP_2)
	v_mul_f64_e32 v[2:3], s[0:1], v[8:9]
	v_mul_f64_e32 v[4:5], s[0:1], v[4:5]
	global_store_b128 v[14:15], v[2:5], off
	global_load_b128 v[2:5], v255, s[8:9] offset:1280
	ds_load_b128 v[6:9], v251 offset:1280
	ds_load_b128 v[10:13], v251 offset:1920
	s_wait_loadcnt_dscnt 0x1
	v_mul_f64_e32 v[16:17], v[8:9], v[4:5]
	v_mul_f64_e32 v[4:5], v[6:7], v[4:5]
	s_delay_alu instid0(VALU_DEP_2) | instskip(NEXT) | instid1(VALU_DEP_2)
	v_fma_f64 v[6:7], v[6:7], v[2:3], v[16:17]
	v_fma_f64 v[4:5], v[2:3], v[8:9], -v[4:5]
	s_delay_alu instid0(VALU_DEP_2) | instskip(NEXT) | instid1(VALU_DEP_2)
	v_mul_f64_e32 v[2:3], s[0:1], v[6:7]
	v_mul_f64_e32 v[4:5], s[0:1], v[4:5]
	v_add_co_u32 v6, vcc_lo, v14, s2
	s_wait_alu 0xfffd
	v_add_co_ci_u32_e32 v7, vcc_lo, s3, v15, vcc_lo
	s_delay_alu instid0(VALU_DEP_2) | instskip(SKIP_1) | instid1(VALU_DEP_2)
	v_add_co_u32 v14, vcc_lo, v6, s2
	s_wait_alu 0xfffd
	v_add_co_ci_u32_e32 v15, vcc_lo, s3, v7, vcc_lo
	global_store_b128 v[6:7], v[2:5], off
	global_load_b128 v[2:5], v255, s[8:9] offset:1920
	s_wait_loadcnt_dscnt 0x0
	v_mul_f64_e32 v[8:9], v[12:13], v[4:5]
	v_mul_f64_e32 v[4:5], v[10:11], v[4:5]
	s_delay_alu instid0(VALU_DEP_2) | instskip(NEXT) | instid1(VALU_DEP_2)
	v_fma_f64 v[8:9], v[10:11], v[2:3], v[8:9]
	v_fma_f64 v[4:5], v[2:3], v[12:13], -v[4:5]
	s_delay_alu instid0(VALU_DEP_2) | instskip(NEXT) | instid1(VALU_DEP_2)
	v_mul_f64_e32 v[2:3], s[0:1], v[8:9]
	v_mul_f64_e32 v[4:5], s[0:1], v[4:5]
	global_store_b128 v[14:15], v[2:5], off
	global_load_b128 v[2:5], v255, s[8:9] offset:2560
	ds_load_b128 v[6:9], v251 offset:2560
	ds_load_b128 v[10:13], v251 offset:3200
	s_wait_loadcnt_dscnt 0x1
	v_mul_f64_e32 v[16:17], v[8:9], v[4:5]
	v_mul_f64_e32 v[4:5], v[6:7], v[4:5]
	s_delay_alu instid0(VALU_DEP_2) | instskip(NEXT) | instid1(VALU_DEP_2)
	v_fma_f64 v[6:7], v[6:7], v[2:3], v[16:17]
	v_fma_f64 v[4:5], v[2:3], v[8:9], -v[4:5]
	s_delay_alu instid0(VALU_DEP_2) | instskip(NEXT) | instid1(VALU_DEP_2)
	v_mul_f64_e32 v[2:3], s[0:1], v[6:7]
	v_mul_f64_e32 v[4:5], s[0:1], v[4:5]
	v_add_co_u32 v6, vcc_lo, v14, s2
	s_wait_alu 0xfffd
	v_add_co_ci_u32_e32 v7, vcc_lo, s3, v15, vcc_lo
	s_delay_alu instid0(VALU_DEP_2) | instskip(SKIP_1) | instid1(VALU_DEP_2)
	v_add_co_u32 v14, vcc_lo, v6, s2
	s_wait_alu 0xfffd
	v_add_co_ci_u32_e32 v15, vcc_lo, s3, v7, vcc_lo
	global_store_b128 v[6:7], v[2:5], off
	global_load_b128 v[2:5], v255, s[8:9] offset:3200
	;; [unrolled: 31-line block ×3, first 2 shown]
	s_wait_loadcnt_dscnt 0x0
	v_mul_f64_e32 v[8:9], v[12:13], v[4:5]
	v_mul_f64_e32 v[4:5], v[10:11], v[4:5]
	s_delay_alu instid0(VALU_DEP_2) | instskip(NEXT) | instid1(VALU_DEP_2)
	v_fma_f64 v[8:9], v[10:11], v[2:3], v[8:9]
	v_fma_f64 v[4:5], v[2:3], v[12:13], -v[4:5]
	s_delay_alu instid0(VALU_DEP_2) | instskip(NEXT) | instid1(VALU_DEP_2)
	v_mul_f64_e32 v[2:3], s[0:1], v[8:9]
	v_mul_f64_e32 v[4:5], s[0:1], v[4:5]
	global_store_b128 v[14:15], v[2:5], off
	global_load_b128 v[2:5], v255, s[8:9] offset:5120
	ds_load_b128 v[6:9], v251 offset:5120
	ds_load_b128 v[10:13], v251 offset:5760
	v_mad_co_u64_u32 v[14:15], null, 0x500, s4, v[14:15]
	s_wait_loadcnt_dscnt 0x1
	v_mul_f64_e32 v[16:17], v[8:9], v[4:5]
	v_mul_f64_e32 v[4:5], v[6:7], v[4:5]
	s_delay_alu instid0(VALU_DEP_2) | instskip(SKIP_3) | instid1(VALU_DEP_2)
	v_fma_f64 v[6:7], v[6:7], v[2:3], v[16:17]
	scratch_load_b32 v16, off, off offset:28 th:TH_LOAD_LU ; 4-byte Folded Reload
	v_fma_f64 v[4:5], v[2:3], v[8:9], -v[4:5]
	v_mul_f64_e32 v[2:3], s[0:1], v[6:7]
	v_mul_f64_e32 v[4:5], s[0:1], v[4:5]
	s_wait_loadcnt 0x0
	v_mad_co_u64_u32 v[8:9], null, s4, v16, 0
	s_delay_alu instid0(VALU_DEP_1) | instskip(NEXT) | instid1(VALU_DEP_1)
	v_mov_b32_e32 v6, v9
	v_mad_co_u64_u32 v[6:7], null, s5, v16, v[6:7]
	s_delay_alu instid0(VALU_DEP_1) | instskip(NEXT) | instid1(VALU_DEP_1)
	v_mov_b32_e32 v9, v6
	v_lshlrev_b64_e32 v[6:7], 4, v[8:9]
	s_delay_alu instid0(VALU_DEP_1) | instskip(SKIP_1) | instid1(VALU_DEP_2)
	v_add_co_u32 v6, vcc_lo, v0, v6
	s_wait_alu 0xfffd
	v_add_co_ci_u32_e32 v7, vcc_lo, v1, v7, vcc_lo
	global_store_b128 v[6:7], v[2:5], off
	global_load_b128 v[2:5], v255, s[8:9] offset:5760
	s_wait_loadcnt_dscnt 0x0
	v_mul_f64_e32 v[6:7], v[12:13], v[4:5]
	v_mul_f64_e32 v[4:5], v[10:11], v[4:5]
	s_delay_alu instid0(VALU_DEP_2) | instskip(NEXT) | instid1(VALU_DEP_2)
	v_fma_f64 v[6:7], v[10:11], v[2:3], v[6:7]
	v_fma_f64 v[4:5], v[2:3], v[12:13], -v[4:5]
	s_delay_alu instid0(VALU_DEP_2) | instskip(SKIP_1) | instid1(VALU_DEP_3)
	v_mul_f64_e32 v[2:3], s[0:1], v[6:7]
	v_mov_b32_e32 v6, v15
	v_mul_f64_e32 v[4:5], s[0:1], v[4:5]
	s_delay_alu instid0(VALU_DEP_2) | instskip(NEXT) | instid1(VALU_DEP_1)
	v_mad_co_u64_u32 v[6:7], null, 0x500, s5, v[6:7]
	v_mov_b32_e32 v15, v6
	global_store_b128 v[14:15], v[2:5], off
	global_load_b128 v[2:5], v255, s[8:9] offset:6400
	ds_load_b128 v[6:9], v251 offset:6400
	ds_load_b128 v[10:13], v251 offset:7040
	s_wait_loadcnt_dscnt 0x1
	v_mul_f64_e32 v[16:17], v[8:9], v[4:5]
	v_mul_f64_e32 v[4:5], v[6:7], v[4:5]
	s_delay_alu instid0(VALU_DEP_2) | instskip(NEXT) | instid1(VALU_DEP_2)
	v_fma_f64 v[6:7], v[6:7], v[2:3], v[16:17]
	v_fma_f64 v[4:5], v[2:3], v[8:9], -v[4:5]
	s_delay_alu instid0(VALU_DEP_2) | instskip(NEXT) | instid1(VALU_DEP_2)
	v_mul_f64_e32 v[2:3], s[0:1], v[6:7]
	v_mul_f64_e32 v[4:5], s[0:1], v[4:5]
	v_add_co_u32 v6, vcc_lo, v14, s2
	s_wait_alu 0xfffd
	v_add_co_ci_u32_e32 v7, vcc_lo, s3, v15, vcc_lo
	s_delay_alu instid0(VALU_DEP_2) | instskip(SKIP_1) | instid1(VALU_DEP_2)
	v_add_co_u32 v14, vcc_lo, v6, s2
	s_wait_alu 0xfffd
	v_add_co_ci_u32_e32 v15, vcc_lo, s3, v7, vcc_lo
	global_store_b128 v[6:7], v[2:5], off
	global_load_b128 v[2:5], v255, s[8:9] offset:7040
	s_wait_loadcnt_dscnt 0x0
	v_mul_f64_e32 v[8:9], v[12:13], v[4:5]
	v_mul_f64_e32 v[4:5], v[10:11], v[4:5]
	s_delay_alu instid0(VALU_DEP_2) | instskip(NEXT) | instid1(VALU_DEP_2)
	v_fma_f64 v[8:9], v[10:11], v[2:3], v[8:9]
	v_fma_f64 v[4:5], v[2:3], v[12:13], -v[4:5]
	s_delay_alu instid0(VALU_DEP_2) | instskip(NEXT) | instid1(VALU_DEP_2)
	v_mul_f64_e32 v[2:3], s[0:1], v[8:9]
	v_mul_f64_e32 v[4:5], s[0:1], v[4:5]
	global_store_b128 v[14:15], v[2:5], off
	global_load_b128 v[2:5], v255, s[8:9] offset:7680
	ds_load_b128 v[6:9], v251 offset:7680
	ds_load_b128 v[10:13], v251 offset:8320
	s_wait_loadcnt_dscnt 0x1
	v_mul_f64_e32 v[16:17], v[8:9], v[4:5]
	v_mul_f64_e32 v[4:5], v[6:7], v[4:5]
	s_delay_alu instid0(VALU_DEP_2) | instskip(NEXT) | instid1(VALU_DEP_2)
	v_fma_f64 v[6:7], v[6:7], v[2:3], v[16:17]
	v_fma_f64 v[4:5], v[2:3], v[8:9], -v[4:5]
	s_delay_alu instid0(VALU_DEP_2) | instskip(NEXT) | instid1(VALU_DEP_2)
	v_mul_f64_e32 v[2:3], s[0:1], v[6:7]
	v_mul_f64_e32 v[4:5], s[0:1], v[4:5]
	v_add_co_u32 v6, vcc_lo, v14, s2
	s_wait_alu 0xfffd
	v_add_co_ci_u32_e32 v7, vcc_lo, s3, v15, vcc_lo
	s_delay_alu instid0(VALU_DEP_2) | instskip(SKIP_1) | instid1(VALU_DEP_2)
	v_add_co_u32 v14, vcc_lo, v6, s2
	s_wait_alu 0xfffd
	v_add_co_ci_u32_e32 v15, vcc_lo, s3, v7, vcc_lo
	global_store_b128 v[6:7], v[2:5], off
	global_load_b128 v[2:5], v255, s[8:9] offset:8320
	s_wait_loadcnt_dscnt 0x0
	v_mul_f64_e32 v[8:9], v[12:13], v[4:5]
	v_mul_f64_e32 v[4:5], v[10:11], v[4:5]
	s_delay_alu instid0(VALU_DEP_2) | instskip(NEXT) | instid1(VALU_DEP_2)
	v_fma_f64 v[8:9], v[10:11], v[2:3], v[8:9]
	v_fma_f64 v[4:5], v[2:3], v[12:13], -v[4:5]
	s_delay_alu instid0(VALU_DEP_2) | instskip(NEXT) | instid1(VALU_DEP_2)
	v_mul_f64_e32 v[2:3], s[0:1], v[8:9]
	v_mul_f64_e32 v[4:5], s[0:1], v[4:5]
	global_store_b128 v[14:15], v[2:5], off
	global_load_b128 v[2:5], v255, s[8:9] offset:8960
	ds_load_b128 v[6:9], v251 offset:8960
	ds_load_b128 v[10:13], v251 offset:9600
	s_wait_loadcnt_dscnt 0x1
	v_mul_f64_e32 v[16:17], v[8:9], v[4:5]
	v_mul_f64_e32 v[4:5], v[6:7], v[4:5]
	s_delay_alu instid0(VALU_DEP_2) | instskip(NEXT) | instid1(VALU_DEP_2)
	v_fma_f64 v[6:7], v[6:7], v[2:3], v[16:17]
	v_fma_f64 v[4:5], v[2:3], v[8:9], -v[4:5]
	s_delay_alu instid0(VALU_DEP_2) | instskip(NEXT) | instid1(VALU_DEP_2)
	v_mul_f64_e32 v[2:3], s[0:1], v[6:7]
	v_mul_f64_e32 v[4:5], s[0:1], v[4:5]
	v_add_co_u32 v6, vcc_lo, v14, s2
	s_wait_alu 0xfffd
	v_add_co_ci_u32_e32 v7, vcc_lo, s3, v15, vcc_lo
	global_store_b128 v[6:7], v[2:5], off
	global_load_b128 v[2:5], v255, s[8:9] offset:9600
	v_add_co_u32 v6, vcc_lo, v6, s2
	s_wait_alu 0xfffd
	v_add_co_ci_u32_e32 v7, vcc_lo, s3, v7, vcc_lo
	s_wait_loadcnt_dscnt 0x0
	v_mul_f64_e32 v[8:9], v[12:13], v[4:5]
	v_mul_f64_e32 v[4:5], v[10:11], v[4:5]
	s_delay_alu instid0(VALU_DEP_2) | instskip(NEXT) | instid1(VALU_DEP_2)
	v_fma_f64 v[8:9], v[10:11], v[2:3], v[8:9]
	v_fma_f64 v[4:5], v[2:3], v[12:13], -v[4:5]
	s_delay_alu instid0(VALU_DEP_2) | instskip(NEXT) | instid1(VALU_DEP_2)
	v_mul_f64_e32 v[2:3], s[0:1], v[8:9]
	v_mul_f64_e32 v[4:5], s[0:1], v[4:5]
	global_store_b128 v[6:7], v[2:5], off
	global_load_b128 v[2:5], v255, s[8:9] offset:10240
	ds_load_b128 v[6:9], v251 offset:10240
	s_wait_loadcnt_dscnt 0x0
	v_mul_f64_e32 v[10:11], v[8:9], v[4:5]
	v_mul_f64_e32 v[4:5], v[6:7], v[4:5]
	s_delay_alu instid0(VALU_DEP_2) | instskip(SKIP_3) | instid1(VALU_DEP_2)
	v_fma_f64 v[6:7], v[6:7], v[2:3], v[10:11]
	scratch_load_b32 v10, off, off offset:24 th:TH_LOAD_LU ; 4-byte Folded Reload
	v_fma_f64 v[4:5], v[2:3], v[8:9], -v[4:5]
	v_mul_f64_e32 v[2:3], s[0:1], v[6:7]
	v_mul_f64_e32 v[4:5], s[0:1], v[4:5]
	s_wait_loadcnt 0x0
	v_mad_co_u64_u32 v[8:9], null, s4, v10, 0
	s_delay_alu instid0(VALU_DEP_1) | instskip(NEXT) | instid1(VALU_DEP_1)
	v_mov_b32_e32 v6, v9
	v_mad_co_u64_u32 v[6:7], null, s5, v10, v[6:7]
	s_delay_alu instid0(VALU_DEP_1) | instskip(NEXT) | instid1(VALU_DEP_1)
	v_mov_b32_e32 v9, v6
	v_lshlrev_b64_e32 v[6:7], 4, v[8:9]
	s_delay_alu instid0(VALU_DEP_1) | instskip(SKIP_1) | instid1(VALU_DEP_2)
	v_add_co_u32 v0, vcc_lo, v0, v6
	s_wait_alu 0xfffd
	v_add_co_ci_u32_e32 v1, vcc_lo, v1, v7, vcc_lo
	global_store_b128 v[0:1], v[2:5], off
.LBB0_23:
	s_nop 0
	s_sendmsg sendmsg(MSG_DEALLOC_VGPRS)
	s_endpgm
	.section	.rodata,"a",@progbits
	.p2align	6, 0x0
	.amdhsa_kernel bluestein_single_fwd_len680_dim1_dp_op_CI_CI
		.amdhsa_group_segment_fixed_size 32640
		.amdhsa_private_segment_fixed_size 480
		.amdhsa_kernarg_size 104
		.amdhsa_user_sgpr_count 2
		.amdhsa_user_sgpr_dispatch_ptr 0
		.amdhsa_user_sgpr_queue_ptr 0
		.amdhsa_user_sgpr_kernarg_segment_ptr 1
		.amdhsa_user_sgpr_dispatch_id 0
		.amdhsa_user_sgpr_private_segment_size 0
		.amdhsa_wavefront_size32 1
		.amdhsa_uses_dynamic_stack 0
		.amdhsa_enable_private_segment 1
		.amdhsa_system_sgpr_workgroup_id_x 1
		.amdhsa_system_sgpr_workgroup_id_y 0
		.amdhsa_system_sgpr_workgroup_id_z 0
		.amdhsa_system_sgpr_workgroup_info 0
		.amdhsa_system_vgpr_workitem_id 0
		.amdhsa_next_free_vgpr 256
		.amdhsa_next_free_sgpr 60
		.amdhsa_reserve_vcc 1
		.amdhsa_float_round_mode_32 0
		.amdhsa_float_round_mode_16_64 0
		.amdhsa_float_denorm_mode_32 3
		.amdhsa_float_denorm_mode_16_64 3
		.amdhsa_fp16_overflow 0
		.amdhsa_workgroup_processor_mode 1
		.amdhsa_memory_ordered 1
		.amdhsa_forward_progress 0
		.amdhsa_round_robin_scheduling 0
		.amdhsa_exception_fp_ieee_invalid_op 0
		.amdhsa_exception_fp_denorm_src 0
		.amdhsa_exception_fp_ieee_div_zero 0
		.amdhsa_exception_fp_ieee_overflow 0
		.amdhsa_exception_fp_ieee_underflow 0
		.amdhsa_exception_fp_ieee_inexact 0
		.amdhsa_exception_int_div_zero 0
	.end_amdhsa_kernel
	.text
.Lfunc_end0:
	.size	bluestein_single_fwd_len680_dim1_dp_op_CI_CI, .Lfunc_end0-bluestein_single_fwd_len680_dim1_dp_op_CI_CI
                                        ; -- End function
	.section	.AMDGPU.csdata,"",@progbits
; Kernel info:
; codeLenInByte = 23844
; NumSgprs: 62
; NumVgprs: 256
; ScratchSize: 480
; MemoryBound: 0
; FloatMode: 240
; IeeeMode: 1
; LDSByteSize: 32640 bytes/workgroup (compile time only)
; SGPRBlocks: 7
; VGPRBlocks: 31
; NumSGPRsForWavesPerEU: 62
; NumVGPRsForWavesPerEU: 256
; Occupancy: 5
; WaveLimiterHint : 1
; COMPUTE_PGM_RSRC2:SCRATCH_EN: 1
; COMPUTE_PGM_RSRC2:USER_SGPR: 2
; COMPUTE_PGM_RSRC2:TRAP_HANDLER: 0
; COMPUTE_PGM_RSRC2:TGID_X_EN: 1
; COMPUTE_PGM_RSRC2:TGID_Y_EN: 0
; COMPUTE_PGM_RSRC2:TGID_Z_EN: 0
; COMPUTE_PGM_RSRC2:TIDIG_COMP_CNT: 0
	.text
	.p2alignl 7, 3214868480
	.fill 96, 4, 3214868480
	.type	__hip_cuid_306893bcacc3b334,@object ; @__hip_cuid_306893bcacc3b334
	.section	.bss,"aw",@nobits
	.globl	__hip_cuid_306893bcacc3b334
__hip_cuid_306893bcacc3b334:
	.byte	0                               ; 0x0
	.size	__hip_cuid_306893bcacc3b334, 1

	.ident	"AMD clang version 19.0.0git (https://github.com/RadeonOpenCompute/llvm-project roc-6.4.0 25133 c7fe45cf4b819c5991fe208aaa96edf142730f1d)"
	.section	".note.GNU-stack","",@progbits
	.addrsig
	.addrsig_sym __hip_cuid_306893bcacc3b334
	.amdgpu_metadata
---
amdhsa.kernels:
  - .args:
      - .actual_access:  read_only
        .address_space:  global
        .offset:         0
        .size:           8
        .value_kind:     global_buffer
      - .actual_access:  read_only
        .address_space:  global
        .offset:         8
        .size:           8
        .value_kind:     global_buffer
      - .actual_access:  read_only
        .address_space:  global
        .offset:         16
        .size:           8
        .value_kind:     global_buffer
      - .actual_access:  read_only
        .address_space:  global
        .offset:         24
        .size:           8
        .value_kind:     global_buffer
      - .actual_access:  read_only
        .address_space:  global
        .offset:         32
        .size:           8
        .value_kind:     global_buffer
      - .offset:         40
        .size:           8
        .value_kind:     by_value
      - .address_space:  global
        .offset:         48
        .size:           8
        .value_kind:     global_buffer
      - .address_space:  global
        .offset:         56
        .size:           8
        .value_kind:     global_buffer
      - .address_space:  global
        .offset:         64
        .size:           8
        .value_kind:     global_buffer
      - .address_space:  global
        .offset:         72
        .size:           8
        .value_kind:     global_buffer
      - .offset:         80
        .size:           4
        .value_kind:     by_value
      - .address_space:  global
        .offset:         88
        .size:           8
        .value_kind:     global_buffer
      - .address_space:  global
        .offset:         96
        .size:           8
        .value_kind:     global_buffer
    .group_segment_fixed_size: 32640
    .kernarg_segment_align: 8
    .kernarg_segment_size: 104
    .language:       OpenCL C
    .language_version:
      - 2
      - 0
    .max_flat_workgroup_size: 204
    .name:           bluestein_single_fwd_len680_dim1_dp_op_CI_CI
    .private_segment_fixed_size: 480
    .sgpr_count:     62
    .sgpr_spill_count: 0
    .symbol:         bluestein_single_fwd_len680_dim1_dp_op_CI_CI.kd
    .uniform_work_group_size: 1
    .uses_dynamic_stack: false
    .vgpr_count:     256
    .vgpr_spill_count: 185
    .wavefront_size: 32
    .workgroup_processor_mode: 1
amdhsa.target:   amdgcn-amd-amdhsa--gfx1201
amdhsa.version:
  - 1
  - 2
...

	.end_amdgpu_metadata
